;; amdgpu-corpus repo=ROCm/rocFFT kind=compiled arch=gfx1100 opt=O3
	.text
	.amdgcn_target "amdgcn-amd-amdhsa--gfx1100"
	.amdhsa_code_object_version 6
	.protected	fft_rtc_back_len1078_factors_2_11_7_7_wgs_231_tpt_77_halfLds_dp_ip_CI_unitstride_sbrr_dirReg ; -- Begin function fft_rtc_back_len1078_factors_2_11_7_7_wgs_231_tpt_77_halfLds_dp_ip_CI_unitstride_sbrr_dirReg
	.globl	fft_rtc_back_len1078_factors_2_11_7_7_wgs_231_tpt_77_halfLds_dp_ip_CI_unitstride_sbrr_dirReg
	.p2align	8
	.type	fft_rtc_back_len1078_factors_2_11_7_7_wgs_231_tpt_77_halfLds_dp_ip_CI_unitstride_sbrr_dirReg,@function
fft_rtc_back_len1078_factors_2_11_7_7_wgs_231_tpt_77_halfLds_dp_ip_CI_unitstride_sbrr_dirReg: ; @fft_rtc_back_len1078_factors_2_11_7_7_wgs_231_tpt_77_halfLds_dp_ip_CI_unitstride_sbrr_dirReg
; %bb.0:
	s_load_b128 s[4:7], s[0:1], 0x0
	v_mul_u32_u24_e32 v1, 0x354, v0
	s_clause 0x1
	s_load_b64 s[8:9], s[0:1], 0x50
	s_load_b64 s[10:11], s[0:1], 0x18
	v_mov_b32_e32 v3, 0
	v_lshrrev_b32_e32 v4, 16, v1
	s_delay_alu instid0(VALU_DEP_1) | instskip(SKIP_3) | instid1(VALU_DEP_1)
	v_mad_u64_u32 v[1:2], null, s15, 3, v[4:5]
	v_mov_b32_e32 v5, 0
	v_mov_b32_e32 v6, 0
	;; [unrolled: 1-line block ×4, first 2 shown]
	s_waitcnt lgkmcnt(0)
	v_cmp_lt_u64_e64 s2, s[6:7], 2
	v_mov_b32_e32 v9, v1
	s_delay_alu instid0(VALU_DEP_2)
	s_and_b32 vcc_lo, exec_lo, s2
	s_cbranch_vccnz .LBB0_8
; %bb.1:
	s_load_b64 s[2:3], s[0:1], 0x10
	v_dual_mov_b32 v5, 0 :: v_dual_mov_b32 v8, v2
	s_add_u32 s12, s10, 8
	v_dual_mov_b32 v6, 0 :: v_dual_mov_b32 v7, v1
	s_addc_u32 s13, s11, 0
	s_mov_b64 s[16:17], 1
	s_waitcnt lgkmcnt(0)
	s_add_u32 s14, s2, 8
	s_addc_u32 s15, s3, 0
.LBB0_2:                                ; =>This Inner Loop Header: Depth=1
	s_load_b64 s[18:19], s[14:15], 0x0
                                        ; implicit-def: $vgpr9_vgpr10
	s_mov_b32 s2, exec_lo
	s_waitcnt lgkmcnt(0)
	v_or_b32_e32 v4, s19, v8
	s_delay_alu instid0(VALU_DEP_1)
	v_cmpx_ne_u64_e32 0, v[3:4]
	s_xor_b32 s3, exec_lo, s2
	s_cbranch_execz .LBB0_4
; %bb.3:                                ;   in Loop: Header=BB0_2 Depth=1
	v_cvt_f32_u32_e32 v2, s18
	v_cvt_f32_u32_e32 v4, s19
	s_sub_u32 s2, 0, s18
	s_subb_u32 s20, 0, s19
	s_delay_alu instid0(VALU_DEP_1) | instskip(NEXT) | instid1(VALU_DEP_1)
	v_fmac_f32_e32 v2, 0x4f800000, v4
	v_rcp_f32_e32 v2, v2
	s_waitcnt_depctr 0xfff
	v_mul_f32_e32 v2, 0x5f7ffffc, v2
	s_delay_alu instid0(VALU_DEP_1) | instskip(NEXT) | instid1(VALU_DEP_1)
	v_mul_f32_e32 v4, 0x2f800000, v2
	v_trunc_f32_e32 v4, v4
	s_delay_alu instid0(VALU_DEP_1) | instskip(SKIP_1) | instid1(VALU_DEP_2)
	v_fmac_f32_e32 v2, 0xcf800000, v4
	v_cvt_u32_f32_e32 v4, v4
	v_cvt_u32_f32_e32 v2, v2
	s_delay_alu instid0(VALU_DEP_2) | instskip(NEXT) | instid1(VALU_DEP_2)
	v_mul_lo_u32 v9, s2, v4
	v_mul_hi_u32 v10, s2, v2
	v_mul_lo_u32 v11, s20, v2
	s_delay_alu instid0(VALU_DEP_2) | instskip(SKIP_1) | instid1(VALU_DEP_2)
	v_add_nc_u32_e32 v9, v10, v9
	v_mul_lo_u32 v10, s2, v2
	v_add_nc_u32_e32 v9, v9, v11
	s_delay_alu instid0(VALU_DEP_2) | instskip(NEXT) | instid1(VALU_DEP_2)
	v_mul_hi_u32 v11, v2, v10
	v_mul_lo_u32 v12, v2, v9
	v_mul_hi_u32 v13, v2, v9
	v_mul_hi_u32 v14, v4, v10
	v_mul_lo_u32 v10, v4, v10
	v_mul_hi_u32 v15, v4, v9
	v_mul_lo_u32 v9, v4, v9
	v_add_co_u32 v11, vcc_lo, v11, v12
	v_add_co_ci_u32_e32 v12, vcc_lo, 0, v13, vcc_lo
	s_delay_alu instid0(VALU_DEP_2) | instskip(NEXT) | instid1(VALU_DEP_2)
	v_add_co_u32 v10, vcc_lo, v11, v10
	v_add_co_ci_u32_e32 v10, vcc_lo, v12, v14, vcc_lo
	v_add_co_ci_u32_e32 v11, vcc_lo, 0, v15, vcc_lo
	s_delay_alu instid0(VALU_DEP_2) | instskip(NEXT) | instid1(VALU_DEP_2)
	v_add_co_u32 v9, vcc_lo, v10, v9
	v_add_co_ci_u32_e32 v10, vcc_lo, 0, v11, vcc_lo
	s_delay_alu instid0(VALU_DEP_2) | instskip(NEXT) | instid1(VALU_DEP_2)
	v_add_co_u32 v2, vcc_lo, v2, v9
	v_add_co_ci_u32_e32 v4, vcc_lo, v4, v10, vcc_lo
	s_delay_alu instid0(VALU_DEP_2) | instskip(SKIP_1) | instid1(VALU_DEP_3)
	v_mul_hi_u32 v9, s2, v2
	v_mul_lo_u32 v11, s20, v2
	v_mul_lo_u32 v10, s2, v4
	s_delay_alu instid0(VALU_DEP_1) | instskip(SKIP_1) | instid1(VALU_DEP_2)
	v_add_nc_u32_e32 v9, v9, v10
	v_mul_lo_u32 v10, s2, v2
	v_add_nc_u32_e32 v9, v9, v11
	s_delay_alu instid0(VALU_DEP_2) | instskip(NEXT) | instid1(VALU_DEP_2)
	v_mul_hi_u32 v11, v2, v10
	v_mul_lo_u32 v12, v2, v9
	v_mul_hi_u32 v13, v2, v9
	v_mul_hi_u32 v14, v4, v10
	v_mul_lo_u32 v10, v4, v10
	v_mul_hi_u32 v15, v4, v9
	v_mul_lo_u32 v9, v4, v9
	v_add_co_u32 v11, vcc_lo, v11, v12
	v_add_co_ci_u32_e32 v12, vcc_lo, 0, v13, vcc_lo
	s_delay_alu instid0(VALU_DEP_2) | instskip(NEXT) | instid1(VALU_DEP_2)
	v_add_co_u32 v10, vcc_lo, v11, v10
	v_add_co_ci_u32_e32 v10, vcc_lo, v12, v14, vcc_lo
	v_add_co_ci_u32_e32 v11, vcc_lo, 0, v15, vcc_lo
	s_delay_alu instid0(VALU_DEP_2) | instskip(NEXT) | instid1(VALU_DEP_2)
	v_add_co_u32 v9, vcc_lo, v10, v9
	v_add_co_ci_u32_e32 v10, vcc_lo, 0, v11, vcc_lo
	s_delay_alu instid0(VALU_DEP_2) | instskip(NEXT) | instid1(VALU_DEP_2)
	v_add_co_u32 v2, vcc_lo, v2, v9
	v_add_co_ci_u32_e32 v4, vcc_lo, v4, v10, vcc_lo
	s_delay_alu instid0(VALU_DEP_2) | instskip(SKIP_1) | instid1(VALU_DEP_3)
	v_mul_hi_u32 v15, v7, v2
	v_mad_u64_u32 v[11:12], null, v8, v2, 0
	v_mad_u64_u32 v[9:10], null, v7, v4, 0
	;; [unrolled: 1-line block ×3, first 2 shown]
	s_delay_alu instid0(VALU_DEP_2) | instskip(NEXT) | instid1(VALU_DEP_3)
	v_add_co_u32 v2, vcc_lo, v15, v9
	v_add_co_ci_u32_e32 v4, vcc_lo, 0, v10, vcc_lo
	s_delay_alu instid0(VALU_DEP_2) | instskip(NEXT) | instid1(VALU_DEP_2)
	v_add_co_u32 v2, vcc_lo, v2, v11
	v_add_co_ci_u32_e32 v2, vcc_lo, v4, v12, vcc_lo
	v_add_co_ci_u32_e32 v4, vcc_lo, 0, v14, vcc_lo
	s_delay_alu instid0(VALU_DEP_2) | instskip(NEXT) | instid1(VALU_DEP_2)
	v_add_co_u32 v2, vcc_lo, v2, v13
	v_add_co_ci_u32_e32 v4, vcc_lo, 0, v4, vcc_lo
	s_delay_alu instid0(VALU_DEP_2) | instskip(SKIP_1) | instid1(VALU_DEP_3)
	v_mul_lo_u32 v11, s19, v2
	v_mad_u64_u32 v[9:10], null, s18, v2, 0
	v_mul_lo_u32 v12, s18, v4
	s_delay_alu instid0(VALU_DEP_2) | instskip(NEXT) | instid1(VALU_DEP_2)
	v_sub_co_u32 v9, vcc_lo, v7, v9
	v_add3_u32 v10, v10, v12, v11
	s_delay_alu instid0(VALU_DEP_1) | instskip(NEXT) | instid1(VALU_DEP_1)
	v_sub_nc_u32_e32 v11, v8, v10
	v_subrev_co_ci_u32_e64 v11, s2, s19, v11, vcc_lo
	v_add_co_u32 v12, s2, v2, 2
	s_delay_alu instid0(VALU_DEP_1) | instskip(SKIP_3) | instid1(VALU_DEP_3)
	v_add_co_ci_u32_e64 v13, s2, 0, v4, s2
	v_sub_co_u32 v14, s2, v9, s18
	v_sub_co_ci_u32_e32 v10, vcc_lo, v8, v10, vcc_lo
	v_subrev_co_ci_u32_e64 v11, s2, 0, v11, s2
	v_cmp_le_u32_e32 vcc_lo, s18, v14
	s_delay_alu instid0(VALU_DEP_3) | instskip(SKIP_1) | instid1(VALU_DEP_4)
	v_cmp_eq_u32_e64 s2, s19, v10
	v_cndmask_b32_e64 v14, 0, -1, vcc_lo
	v_cmp_le_u32_e32 vcc_lo, s19, v11
	v_cndmask_b32_e64 v15, 0, -1, vcc_lo
	v_cmp_le_u32_e32 vcc_lo, s18, v9
	;; [unrolled: 2-line block ×3, first 2 shown]
	v_cndmask_b32_e64 v16, 0, -1, vcc_lo
	v_cmp_eq_u32_e32 vcc_lo, s19, v11
	s_delay_alu instid0(VALU_DEP_2) | instskip(SKIP_3) | instid1(VALU_DEP_3)
	v_cndmask_b32_e64 v9, v16, v9, s2
	v_cndmask_b32_e32 v11, v15, v14, vcc_lo
	v_add_co_u32 v14, vcc_lo, v2, 1
	v_add_co_ci_u32_e32 v15, vcc_lo, 0, v4, vcc_lo
	v_cmp_ne_u32_e32 vcc_lo, 0, v11
	s_delay_alu instid0(VALU_DEP_2) | instskip(SKIP_1) | instid1(VALU_DEP_2)
	v_dual_cndmask_b32 v10, v15, v13 :: v_dual_cndmask_b32 v11, v14, v12
	v_cmp_ne_u32_e32 vcc_lo, 0, v9
	v_dual_cndmask_b32 v10, v4, v10 :: v_dual_cndmask_b32 v9, v2, v11
.LBB0_4:                                ;   in Loop: Header=BB0_2 Depth=1
	s_and_not1_saveexec_b32 s2, s3
	s_cbranch_execz .LBB0_6
; %bb.5:                                ;   in Loop: Header=BB0_2 Depth=1
	v_cvt_f32_u32_e32 v2, s18
	s_sub_i32 s3, 0, s18
	s_delay_alu instid0(VALU_DEP_1) | instskip(SKIP_2) | instid1(VALU_DEP_1)
	v_rcp_iflag_f32_e32 v2, v2
	s_waitcnt_depctr 0xfff
	v_mul_f32_e32 v2, 0x4f7ffffe, v2
	v_cvt_u32_f32_e32 v2, v2
	s_delay_alu instid0(VALU_DEP_1) | instskip(NEXT) | instid1(VALU_DEP_1)
	v_mul_lo_u32 v4, s3, v2
	v_mul_hi_u32 v4, v2, v4
	s_delay_alu instid0(VALU_DEP_1) | instskip(NEXT) | instid1(VALU_DEP_1)
	v_add_nc_u32_e32 v2, v2, v4
	v_mul_hi_u32 v2, v7, v2
	s_delay_alu instid0(VALU_DEP_1) | instskip(SKIP_1) | instid1(VALU_DEP_2)
	v_mul_lo_u32 v4, v2, s18
	v_add_nc_u32_e32 v9, 1, v2
	v_sub_nc_u32_e32 v4, v7, v4
	s_delay_alu instid0(VALU_DEP_1) | instskip(SKIP_1) | instid1(VALU_DEP_2)
	v_subrev_nc_u32_e32 v10, s18, v4
	v_cmp_le_u32_e32 vcc_lo, s18, v4
	v_cndmask_b32_e32 v4, v4, v10, vcc_lo
	v_mov_b32_e32 v10, v3
	v_cndmask_b32_e32 v2, v2, v9, vcc_lo
	s_delay_alu instid0(VALU_DEP_3) | instskip(NEXT) | instid1(VALU_DEP_2)
	v_cmp_le_u32_e32 vcc_lo, s18, v4
	v_add_nc_u32_e32 v9, 1, v2
	s_delay_alu instid0(VALU_DEP_1)
	v_cndmask_b32_e32 v9, v2, v9, vcc_lo
.LBB0_6:                                ;   in Loop: Header=BB0_2 Depth=1
	s_or_b32 exec_lo, exec_lo, s2
	s_load_b64 s[2:3], s[12:13], 0x0
	v_mul_lo_u32 v2, v10, s18
	s_delay_alu instid0(VALU_DEP_2)
	v_mul_lo_u32 v4, v9, s19
	v_mad_u64_u32 v[11:12], null, v9, s18, 0
	s_add_u32 s16, s16, 1
	s_addc_u32 s17, s17, 0
	s_add_u32 s12, s12, 8
	s_addc_u32 s13, s13, 0
	;; [unrolled: 2-line block ×3, first 2 shown]
	s_delay_alu instid0(VALU_DEP_1) | instskip(SKIP_1) | instid1(VALU_DEP_2)
	v_add3_u32 v2, v12, v4, v2
	v_sub_co_u32 v4, vcc_lo, v7, v11
	v_sub_co_ci_u32_e32 v2, vcc_lo, v8, v2, vcc_lo
	s_waitcnt lgkmcnt(0)
	s_delay_alu instid0(VALU_DEP_2) | instskip(NEXT) | instid1(VALU_DEP_2)
	v_mul_lo_u32 v11, s3, v4
	v_mul_lo_u32 v2, s2, v2
	v_mad_u64_u32 v[7:8], null, s2, v4, v[5:6]
	v_cmp_ge_u64_e64 s2, s[16:17], s[6:7]
	s_delay_alu instid0(VALU_DEP_1) | instskip(NEXT) | instid1(VALU_DEP_2)
	s_and_b32 vcc_lo, exec_lo, s2
	v_add3_u32 v6, v11, v8, v2
	s_delay_alu instid0(VALU_DEP_3)
	v_mov_b32_e32 v5, v7
	s_cbranch_vccnz .LBB0_8
; %bb.7:                                ;   in Loop: Header=BB0_2 Depth=1
	v_dual_mov_b32 v7, v9 :: v_dual_mov_b32 v8, v10
	s_branch .LBB0_2
.LBB0_8:
	s_lshl_b64 s[2:3], s[6:7], 3
                                        ; implicit-def: $vgpr96_vgpr97
                                        ; implicit-def: $vgpr84_vgpr85
                                        ; implicit-def: $vgpr88_vgpr89
                                        ; implicit-def: $vgpr80_vgpr81
                                        ; implicit-def: $vgpr76_vgpr77
                                        ; implicit-def: $vgpr92_vgpr93
                                        ; implicit-def: $vgpr68_vgpr69
                                        ; implicit-def: $vgpr56_vgpr57
                                        ; implicit-def: $vgpr72_vgpr73
                                        ; implicit-def: $vgpr48_vgpr49
                                        ; implicit-def: $vgpr60_vgpr61
                                        ; implicit-def: $vgpr36_vgpr37
                                        ; implicit-def: $vgpr64_vgpr65
                                        ; implicit-def: $vgpr32_vgpr33
	s_delay_alu instid0(SALU_CYCLE_1)
	s_add_u32 s2, s10, s2
	s_addc_u32 s3, s11, s3
	s_load_b64 s[2:3], s[2:3], 0x0
	s_load_b64 s[0:1], s[0:1], 0x20
	s_waitcnt lgkmcnt(0)
	v_mul_lo_u32 v4, s2, v10
	v_mul_lo_u32 v7, s3, v9
	v_mad_u64_u32 v[2:3], null, s2, v9, v[5:6]
	v_mul_hi_u32 v5, 0x3531ded, v0
	v_cmp_gt_u64_e32 vcc_lo, s[0:1], v[9:10]
	s_delay_alu instid0(VALU_DEP_3) | instskip(NEXT) | instid1(VALU_DEP_3)
	v_add3_u32 v3, v7, v3, v4
	v_mul_u32_u24_e32 v4, 0x4d, v5
	s_delay_alu instid0(VALU_DEP_2) | instskip(NEXT) | instid1(VALU_DEP_2)
	v_lshlrev_b64 v[162:163], 4, v[2:3]
	v_sub_nc_u32_e32 v160, v0, v4
	s_and_saveexec_b32 s1, vcc_lo
	s_cbranch_execz .LBB0_10
; %bb.9:
	v_mov_b32_e32 v161, 0
	s_delay_alu instid0(VALU_DEP_3) | instskip(NEXT) | instid1(VALU_DEP_1)
	v_add_co_u32 v0, s0, s8, v162
	v_add_co_ci_u32_e64 v4, s0, s9, v163, s0
	s_delay_alu instid0(VALU_DEP_3) | instskip(NEXT) | instid1(VALU_DEP_1)
	v_lshlrev_b64 v[2:3], 4, v[160:161]
	v_add_co_u32 v2, s0, v0, v2
	s_delay_alu instid0(VALU_DEP_1) | instskip(NEXT) | instid1(VALU_DEP_2)
	v_add_co_ci_u32_e64 v3, s0, v4, v3, s0
	v_add_co_u32 v4, s0, 0x2000, v2
	s_delay_alu instid0(VALU_DEP_1) | instskip(SKIP_1) | instid1(VALU_DEP_1)
	v_add_co_ci_u32_e64 v5, s0, 0, v3, s0
	v_add_co_u32 v6, s0, 0x3000, v2
	v_add_co_ci_u32_e64 v7, s0, 0, v3, s0
	s_clause 0x5
	global_load_b128 v[30:33], v[2:3], off
	global_load_b128 v[34:37], v[2:3], off offset:1232
	global_load_b128 v[46:49], v[2:3], off offset:2464
	global_load_b128 v[54:57], v[2:3], off offset:3696
	global_load_b128 v[62:65], v[4:5], off offset:432
	global_load_b128 v[58:61], v[4:5], off offset:1664
	v_add_co_u32 v2, s0, 0x1000, v2
	s_delay_alu instid0(VALU_DEP_1)
	v_add_co_ci_u32_e64 v3, s0, 0, v3, s0
	s_clause 0x7
	global_load_b128 v[70:73], v[4:5], off offset:2896
	global_load_b128 v[66:69], v[6:7], off offset:32
	;; [unrolled: 1-line block ×8, first 2 shown]
.LBB0_10:
	s_or_b32 exec_lo, exec_lo, s1
	s_waitcnt vmcnt(8)
	v_add_f64 v[8:9], v[34:35], -v[58:59]
	v_add_f64 v[12:13], v[30:31], -v[62:63]
	s_waitcnt vmcnt(7)
	v_add_f64 v[16:17], v[46:47], -v[70:71]
	s_waitcnt vmcnt(6)
	;; [unrolled: 2-line block ×3, first 2 shown]
	v_add_f64 v[28:29], v[90:91], -v[74:75]
	v_add_f64 v[4:5], v[78:79], -v[86:87]
	s_waitcnt vmcnt(0)
	v_add_f64 v[20:21], v[82:83], -v[94:95]
	v_mul_hi_u32 v0, 0xaaaaaaab, v1
	v_add_nc_u32_e32 v170, 0x4d, v160
	v_cmp_gt_u32_e64 s0, 21, v160
                                        ; implicit-def: $vgpr164_vgpr165
	s_delay_alu instid0(VALU_DEP_3) | instskip(NEXT) | instid1(VALU_DEP_1)
	v_lshrrev_b32_e32 v0, 1, v0
	v_lshl_add_u32 v0, v0, 1, v0
	s_delay_alu instid0(VALU_DEP_1) | instskip(NEXT) | instid1(VALU_DEP_1)
	v_sub_nc_u32_e32 v0, v1, v0
	v_mul_u32_u24_e32 v0, 0x436, v0
	s_delay_alu instid0(VALU_DEP_1)
	v_lshlrev_b32_e32 v172, 3, v0
	v_lshlrev_b32_e32 v0, 3, v160
	v_fma_f64 v[6:7], v[34:35], 2.0, -v[8:9]
	v_fma_f64 v[10:11], v[30:31], 2.0, -v[12:13]
	;; [unrolled: 1-line block ×7, first 2 shown]
	v_add_nc_u32_e32 v1, 0, v172
	v_add3_u32 v161, 0, v0, v172
	s_delay_alu instid0(VALU_DEP_2) | instskip(SKIP_2) | instid1(VALU_DEP_4)
	v_lshl_add_u32 v39, v170, 4, v1
	v_add_nc_u32_e32 v171, v1, v0
	v_lshl_add_u32 v34, v160, 4, v1
	v_add_nc_u32_e32 v35, 0x800, v161
	v_add_nc_u32_e32 v38, 0xc00, v161
	;; [unrolled: 1-line block ×7, first 2 shown]
	ds_store_b128 v39, v[6:9]
	ds_store_b128 v34, v[10:13]
	ds_store_b128 v34, v[14:17] offset:2464
	ds_store_b128 v34, v[22:25] offset:3696
	;; [unrolled: 1-line block ×5, first 2 shown]
	s_waitcnt lgkmcnt(0)
	s_barrier
	buffer_gl0_inv
	ds_load_b64 v[166:167], v171
	ds_load_2addr_b64 v[52:55], v161 offset0:98 offset1:196
	ds_load_2addr_b64 v[44:47], v35 offset0:38 offset1:136
	ds_load_2addr_b64 v[28:31], v38 offset0:106 offset1:204
	ds_load_2addr_b64 v[24:27], v50 offset0:46 offset1:144
	ds_load_2addr_b64 v[40:43], v51 offset0:114 offset1:212
                                        ; implicit-def: $vgpr8_vgpr9
                                        ; implicit-def: $vgpr16_vgpr17
                                        ; implicit-def: $vgpr12_vgpr13
                                        ; implicit-def: $vgpr22_vgpr23
	s_and_saveexec_b32 s1, s0
	s_cbranch_execz .LBB0_12
; %bb.11:
	ds_load_2addr_b64 v[20:23], v35 offset0:17 offset1:115
	ds_load_2addr_b64 v[0:3], v161 offset0:77 offset1:175
	s_waitcnt lgkmcnt(0)
	v_dual_mov_b32 v19, v3 :: v_dual_add_nc_u32 v4, 0x1000, v161
	ds_load_2addr_b64 v[10:13], v38 offset0:85 offset1:183
	ds_load_2addr_b64 v[6:9], v51 offset0:93 offset1:191
	ds_load_b64 v[164:165], v161 offset:8456
	ds_load_2addr_b64 v[14:17], v4 offset0:153 offset1:251
	v_dual_mov_b32 v18, v2 :: v_dual_mov_b32 v5, v1
	v_mov_b32_e32 v4, v0
.LBB0_12:
	s_or_b32 exec_lo, exec_lo, s1
	v_add_f64 v[70:71], v[32:33], -v[64:65]
	v_add_f64 v[74:75], v[56:57], -v[68:69]
	;; [unrolled: 1-line block ×7, first 2 shown]
	s_waitcnt lgkmcnt(0)
	s_barrier
	buffer_gl0_inv
                                        ; implicit-def: $vgpr168_vgpr169
	v_fma_f64 v[68:69], v[32:33], 2.0, -v[70:71]
	v_fma_f64 v[72:73], v[56:57], 2.0, -v[74:75]
	;; [unrolled: 1-line block ×7, first 2 shown]
	ds_store_b128 v34, v[68:71]
	ds_store_b128 v34, v[72:75] offset:3696
	ds_store_b128 v66, v[76:79]
	ds_store_b128 v59, v[88:91]
	;; [unrolled: 1-line block ×3, first 2 shown]
	ds_store_b128 v34, v[0:3] offset:6160
	ds_store_b128 v58, v[60:63]
	s_waitcnt lgkmcnt(0)
	s_barrier
	buffer_gl0_inv
	ds_load_b64 v[0:1], v171
	ds_load_2addr_b64 v[76:79], v161 offset0:98 offset1:196
	ds_load_2addr_b64 v[72:75], v35 offset0:38 offset1:136
	;; [unrolled: 1-line block ×5, first 2 shown]
                                        ; implicit-def: $vgpr34_vgpr35
                                        ; implicit-def: $vgpr38_vgpr39
                                        ; implicit-def: $vgpr50_vgpr51
                                        ; implicit-def: $vgpr58_vgpr59
	s_and_saveexec_b32 s1, s0
	s_cbranch_execz .LBB0_14
; %bb.13:
	ds_load_2addr_b64 v[84:87], v161 offset0:77 offset1:175
	v_add_nc_u32_e32 v2, 0x800, v161
	s_waitcnt lgkmcnt(0)
	v_dual_mov_b32 v60, v86 :: v_dual_add_nc_u32 v3, 0xc00, v161
	v_mov_b32_e32 v61, v87
	ds_load_2addr_b64 v[56:59], v2 offset0:17 offset1:115
	v_add_nc_u32_e32 v32, 0x1000, v161
	s_waitcnt lgkmcnt(0)
	v_dual_mov_b32 v63, v57 :: v_dual_add_nc_u32 v2, 0x1800, v161
	ds_load_b64 v[168:169], v161 offset:8456
	ds_load_2addr_b64 v[48:51], v3 offset0:85 offset1:183
	ds_load_2addr_b64 v[36:39], v32 offset0:153 offset1:251
	;; [unrolled: 1-line block ×3, first 2 shown]
	v_dual_mov_b32 v2, v84 :: v_dual_mov_b32 v3, v85
	v_mov_b32_e32 v62, v56
.LBB0_14:
	s_or_b32 exec_lo, exec_lo, s1
	v_and_b32_e32 v174, 1, v160
	v_and_b32_e32 v173, 1, v170
	s_mov_b32 s6, 0xf8bb580b
	s_mov_b32 s2, 0x8eee2c13
	;; [unrolled: 1-line block ×3, first 2 shown]
	v_mul_u32_u24_e32 v56, 10, v174
	s_mov_b32 s12, 0xbb3a28a1
	s_mov_b32 s7, 0xbfe14ced
	;; [unrolled: 1-line block ×4, first 2 shown]
	v_lshlrev_b32_e32 v56, 4, v56
	s_mov_b32 s13, 0xbfe82f19
	s_mov_b32 s14, 0xfd768dbf
	;; [unrolled: 1-line block ×4, first 2 shown]
	s_clause 0x9
	global_load_b128 v[92:95], v56, s[4:5]
	global_load_b128 v[88:91], v56, s[4:5] offset:16
	global_load_b128 v[156:159], v56, s[4:5] offset:144
	;; [unrolled: 1-line block ×9, first 2 shown]
	v_mul_u32_u24_e32 v56, 10, v173
	s_mov_b32 s24, 0xd9c712b6
	s_mov_b32 s22, 0x640f44db
	;; [unrolled: 1-line block ×4, first 2 shown]
	v_lshlrev_b32_e32 v175, 4, v56
	s_mov_b32 s25, 0x3fda9628
	s_mov_b32 s23, 0xbfc2375f
	;; [unrolled: 1-line block ×3, first 2 shown]
	s_clause 0x9
	global_load_b128 v[144:147], v175, s[4:5]
	global_load_b128 v[124:127], v175, s[4:5] offset:16
	global_load_b128 v[96:99], v175, s[4:5] offset:32
	;; [unrolled: 1-line block ×9, first 2 shown]
	s_mov_b32 s17, 0x3fefac9e
	s_mov_b32 s21, 0x3fe14ced
	;; [unrolled: 1-line block ×10, first 2 shown]
	s_waitcnt vmcnt(0) lgkmcnt(0)
	s_barrier
	buffer_gl0_inv
	v_mul_f64 v[56:57], v[76:77], v[94:95]
	v_mul_f64 v[179:180], v[78:79], v[90:91]
	;; [unrolled: 1-line block ×6, first 2 shown]
	v_fma_f64 v[56:57], v[52:53], v[92:93], v[56:57]
	v_mul_f64 v[52:53], v[52:53], v[94:95]
	v_fma_f64 v[94:95], v[54:55], v[88:89], v[179:180]
	v_mul_f64 v[54:55], v[54:55], v[90:91]
	v_fma_f64 v[90:91], v[44:45], v[152:153], v[183:184]
	v_add_f64 v[179:180], v[166:167], v[56:57]
	v_fma_f64 v[158:159], v[76:77], v[92:93], -v[52:53]
	v_fma_f64 v[76:77], v[82:83], v[156:157], -v[181:182]
	v_mul_f64 v[52:53], v[44:45], v[154:155]
	v_mul_f64 v[82:83], v[74:75], v[138:139]
	;; [unrolled: 1-line block ×3, first 2 shown]
	v_fma_f64 v[154:155], v[78:79], v[88:89], -v[54:55]
	v_mul_f64 v[54:55], v[80:81], v[150:151]
	v_fma_f64 v[150:151], v[42:43], v[156:157], v[187:188]
	v_fma_f64 v[78:79], v[80:81], v[148:149], -v[185:186]
	v_mul_f64 v[88:89], v[46:47], v[138:139]
	v_mul_f64 v[138:139], v[64:65], v[130:131]
	;; [unrolled: 1-line block ×7, first 2 shown]
	v_add_f64 v[44:45], v[179:180], v[94:95]
	v_mul_f64 v[179:180], v[28:29], v[130:131]
	v_add_f64 v[42:43], v[158:159], -v[76:77]
	v_fma_f64 v[130:131], v[72:73], v[152:153], -v[52:53]
	v_fma_f64 v[80:81], v[46:47], v[136:137], v[82:83]
	v_fma_f64 v[70:71], v[70:71], v[132:133], -v[92:93]
	v_fma_f64 v[134:135], v[40:41], v[148:149], v[54:55]
	v_add_f64 v[46:47], v[56:57], v[150:151]
	v_add_f64 v[40:41], v[154:155], -v[78:79]
	v_mul_f64 v[148:149], v[66:67], v[122:123]
	v_mul_f64 v[122:123], v[30:31], v[122:123]
	v_fma_f64 v[92:93], v[74:75], v[136:137], -v[88:89]
	v_mul_f64 v[136:137], v[60:61], v[146:147]
	v_mul_f64 v[146:147], v[18:19], v[146:147]
	v_fma_f64 v[118:119], v[26:27], v[132:133], v[156:157]
	v_fma_f64 v[26:27], v[28:29], v[128:129], v[138:139]
	v_fma_f64 v[72:73], v[68:69], v[116:117], -v[181:182]
	v_fma_f64 v[24:25], v[24:25], v[116:117], v[185:186]
	v_add_f64 v[44:45], v[44:45], v[90:91]
	v_fma_f64 v[82:83], v[64:65], v[128:129], -v[179:180]
	v_mul_f64 v[52:53], v[42:43], s[6:7]
	v_mul_f64 v[54:55], v[42:43], s[2:3]
	;; [unrolled: 1-line block ×5, first 2 shown]
	v_add_f64 v[68:69], v[94:95], v[134:135]
	v_mul_f64 v[128:129], v[40:41], s[2:3]
	v_mul_f64 v[138:139], v[40:41], s[12:13]
	;; [unrolled: 1-line block ×3, first 2 shown]
	v_fma_f64 v[74:75], v[30:31], v[120:121], v[148:149]
	v_mul_f64 v[30:31], v[40:41], s[16:17]
	v_mul_f64 v[148:149], v[40:41], s[20:21]
	v_fma_f64 v[88:89], v[66:67], v[120:121], -v[122:123]
	v_fma_f64 v[40:41], v[20:21], v[124:125], v[187:188]
	v_fma_f64 v[66:67], v[60:61], v[144:145], -v[146:147]
	v_fma_f64 v[64:65], v[18:19], v[144:145], v[136:137]
	v_add_f64 v[18:19], v[90:91], v[118:119]
	v_add_f64 v[28:29], v[44:45], v[80:81]
	v_add_f64 v[44:45], v[130:131], -v[70:71]
	v_fma_f64 v[132:133], v[46:47], s[28:29], v[52:53]
	v_fma_f64 v[156:157], v[46:47], s[24:25], v[54:55]
	v_fma_f64 v[54:55], v[46:47], s[24:25], -v[54:55]
	v_fma_f64 v[181:182], v[46:47], s[22:23], v[152:153]
	v_fma_f64 v[120:121], v[46:47], s[30:31], v[183:184]
	v_fma_f64 v[122:123], v[46:47], s[30:31], -v[183:184]
	v_fma_f64 v[183:184], v[46:47], s[34:35], v[42:43]
	v_fma_f64 v[20:21], v[46:47], s[34:35], -v[42:43]
	v_fma_f64 v[60:61], v[46:47], s[22:23], -v[152:153]
	;; [unrolled: 1-line block ×3, first 2 shown]
	v_add_f64 v[42:43], v[92:93], -v[72:73]
	v_fma_f64 v[144:145], v[68:69], s[24:25], v[128:129]
	v_fma_f64 v[146:147], v[68:69], s[30:31], v[138:139]
	v_fma_f64 v[128:129], v[68:69], s[24:25], -v[128:129]
	v_fma_f64 v[138:139], v[68:69], s[30:31], -v[138:139]
	v_fma_f64 v[185:186], v[68:69], s[22:23], v[30:31]
	v_fma_f64 v[30:31], v[68:69], s[22:23], -v[30:31]
	v_fma_f64 v[187:188], v[68:69], s[28:29], v[148:149]
	v_add_f64 v[28:29], v[28:29], v[26:27]
	v_mul_f64 v[52:53], v[44:45], s[10:11]
	v_mul_f64 v[116:117], v[44:45], s[18:19]
	;; [unrolled: 1-line block ×3, first 2 shown]
	v_add_f64 v[132:133], v[166:167], v[132:133]
	v_add_f64 v[152:153], v[166:167], v[156:157]
	v_fma_f64 v[156:157], v[68:69], s[34:35], v[179:180]
	v_fma_f64 v[179:180], v[68:69], s[34:35], -v[179:180]
	v_add_f64 v[54:55], v[166:167], v[54:55]
	v_add_f64 v[181:182], v[166:167], v[181:182]
	v_fma_f64 v[68:69], v[68:69], s[28:29], -v[148:149]
	v_mul_f64 v[148:149], v[44:45], s[6:7]
	v_add_f64 v[120:121], v[166:167], v[120:121]
	v_add_f64 v[122:123], v[166:167], v[122:123]
	v_mul_f64 v[44:45], v[44:45], s[12:13]
	v_add_f64 v[183:184], v[166:167], v[183:184]
	v_add_f64 v[20:21], v[166:167], v[20:21]
	;; [unrolled: 1-line block ×4, first 2 shown]
	v_add_f64 v[166:167], v[82:83], -v[88:89]
	v_fma_f64 v[60:61], v[62:63], v[124:125], -v[126:127]
	v_add_f64 v[62:63], v[80:81], v[24:25]
	v_mul_f64 v[124:125], v[42:43], s[12:13]
	v_add_f64 v[28:29], v[28:29], v[74:75]
	v_fma_f64 v[126:127], v[18:19], s[24:25], v[136:137]
	v_add_f64 v[132:133], v[144:145], v[132:133]
	v_fma_f64 v[144:145], v[18:19], s[22:23], v[52:53]
	;; [unrolled: 2-line block ×3, first 2 shown]
	v_fma_f64 v[116:117], v[18:19], s[34:35], -v[116:117]
	v_add_f64 v[54:55], v[138:139], v[54:55]
	v_add_f64 v[138:139], v[156:157], v[181:182]
	v_mul_f64 v[156:157], v[42:43], s[16:17]
	v_mul_f64 v[181:182], v[42:43], s[6:7]
	v_fma_f64 v[191:192], v[18:19], s[28:29], v[148:149]
	v_add_f64 v[120:121], v[185:186], v[120:121]
	v_fma_f64 v[148:149], v[18:19], s[28:29], -v[148:149]
	v_add_f64 v[30:31], v[30:31], v[122:123]
	v_mul_f64 v[122:123], v[42:43], s[14:15]
	v_fma_f64 v[185:186], v[18:19], s[30:31], v[44:45]
	v_add_f64 v[183:184], v[187:188], v[183:184]
	v_mul_f64 v[42:43], v[42:43], s[26:27]
	v_fma_f64 v[44:45], v[18:19], s[30:31], -v[44:45]
	v_add_f64 v[20:21], v[68:69], v[20:21]
	v_fma_f64 v[52:53], v[18:19], s[22:23], -v[52:53]
	v_fma_f64 v[18:19], v[18:19], s[24:25], -v[136:137]
	v_add_f64 v[68:69], v[179:180], v[189:190]
	v_add_f64 v[46:47], v[128:129], v[46:47]
	v_mul_f64 v[187:188], v[58:59], v[98:99]
	v_mul_f64 v[98:99], v[22:23], v[98:99]
	v_add_f64 v[128:129], v[26:27], v[74:75]
	v_mul_f64 v[136:137], v[166:167], s[14:15]
	v_mul_f64 v[179:180], v[166:167], s[20:21]
	v_fma_f64 v[189:190], v[62:63], s[30:31], v[124:125]
	v_fma_f64 v[124:125], v[62:63], s[30:31], -v[124:125]
	v_add_f64 v[28:29], v[28:29], v[24:25]
	v_add_f64 v[132:133], v[144:145], v[132:133]
	v_mul_f64 v[144:145], v[166:167], s[12:13]
	v_add_f64 v[146:147], v[152:153], v[146:147]
	v_mul_f64 v[152:153], v[166:167], s[26:27]
	v_mul_f64 v[166:167], v[166:167], s[10:11]
	v_add_f64 v[116:117], v[116:117], v[54:55]
	v_add_f64 v[126:127], v[126:127], v[138:139]
	v_fma_f64 v[138:139], v[62:63], s[22:23], v[156:157]
	v_fma_f64 v[156:157], v[62:63], s[22:23], -v[156:157]
	v_add_f64 v[120:121], v[191:192], v[120:121]
	v_fma_f64 v[191:192], v[62:63], s[28:29], v[181:182]
	v_add_f64 v[30:31], v[148:149], v[30:31]
	v_fma_f64 v[148:149], v[62:63], s[34:35], v[122:123]
	v_fma_f64 v[122:123], v[62:63], s[34:35], -v[122:123]
	v_add_f64 v[183:184], v[185:186], v[183:184]
	v_fma_f64 v[185:186], v[62:63], s[24:25], v[42:43]
	v_fma_f64 v[42:43], v[62:63], s[24:25], -v[42:43]
	v_add_f64 v[20:21], v[44:45], v[20:21]
	v_fma_f64 v[181:182], v[62:63], s[28:29], -v[181:182]
	v_mul_f64 v[44:45], v[12:13], v[102:103]
	v_add_f64 v[18:19], v[18:19], v[68:69]
	v_add_f64 v[46:47], v[52:53], v[46:47]
	v_fma_f64 v[54:55], v[22:23], v[96:97], v[187:188]
	v_mul_f64 v[22:23], v[48:49], v[86:87]
	v_mul_f64 v[86:87], v[10:11], v[86:87]
	;; [unrolled: 1-line block ×4, first 2 shown]
	v_fma_f64 v[62:63], v[58:59], v[96:97], -v[98:99]
	v_fma_f64 v[96:97], v[128:129], s[34:35], v[136:137]
	v_fma_f64 v[98:99], v[128:129], s[34:35], -v[136:137]
	v_fma_f64 v[102:103], v[128:129], s[28:29], v[179:180]
	v_fma_f64 v[136:137], v[128:129], s[28:29], -v[179:180]
	v_mul_f64 v[106:107], v[14:15], v[106:107]
	v_add_f64 v[28:29], v[28:29], v[118:119]
	v_add_f64 v[132:133], v[189:190], v[132:133]
	v_fma_f64 v[179:180], v[128:129], s[30:31], v[144:145]
	v_fma_f64 v[144:145], v[128:129], s[30:31], -v[144:145]
	v_fma_f64 v[193:194], v[128:129], s[24:25], v[152:153]
	v_fma_f64 v[152:153], v[128:129], s[24:25], -v[152:153]
	;; [unrolled: 2-line block ×3, first 2 shown]
	v_mul_f64 v[166:167], v[38:39], v[110:111]
	v_add_f64 v[138:139], v[138:139], v[146:147]
	v_mul_f64 v[110:111], v[16:17], v[110:111]
	v_add_f64 v[116:117], v[156:157], v[116:117]
	;; [unrolled: 2-line block ×5, first 2 shown]
	v_mul_f64 v[122:123], v[8:9], v[142:143]
	v_mul_f64 v[156:157], v[168:169], v[177:178]
	;; [unrolled: 1-line block ×3, first 2 shown]
	v_add_f64 v[142:143], v[185:186], v[183:184]
	v_add_f64 v[20:21], v[42:43], v[20:21]
	;; [unrolled: 1-line block ×4, first 2 shown]
	v_fma_f64 v[52:53], v[10:11], v[84:85], v[22:23]
	v_fma_f64 v[58:59], v[48:49], v[84:85], -v[86:87]
	v_fma_f64 v[42:43], v[12:13], v[100:101], v[187:188]
	v_fma_f64 v[46:47], v[50:51], v[100:101], -v[44:45]
	v_fma_f64 v[44:45], v[14:15], v[104:105], v[68:69]
	v_lshrrev_b32_e32 v84, 1, v160
	v_fma_f64 v[48:49], v[36:37], v[104:105], -v[106:107]
	v_add_f64 v[181:182], v[28:29], v[134:135]
	s_delay_alu instid0(VALU_DEP_3) | instskip(NEXT) | instid1(VALU_DEP_1)
	v_mul_u32_u24_e32 v84, 22, v84
	v_or_b32_e32 v84, v84, v174
	s_delay_alu instid0(VALU_DEP_1)
	v_lshlrev_b32_e32 v84, 3, v84
	v_fma_f64 v[50:51], v[16:17], v[108:109], v[166:167]
	v_fma_f64 v[36:37], v[38:39], v[108:109], -v[110:111]
	v_add_f64 v[10:11], v[136:137], v[116:117]
	v_fma_f64 v[38:39], v[6:7], v[112:113], v[146:147]
	v_add_f64 v[12:13], v[179:180], v[126:127]
	v_fma_f64 v[32:33], v[32:33], v[112:113], -v[114:115]
	v_add_f64 v[14:15], v[193:194], v[120:121]
	v_fma_f64 v[68:69], v[8:9], v[140:141], v[148:149]
	v_add_f64 v[8:9], v[102:103], v[138:139]
	v_fma_f64 v[28:29], v[34:35], v[140:141], -v[122:123]
	v_fma_f64 v[34:35], v[164:165], v[175:176], v[156:157]
	v_add_f64 v[16:17], v[152:153], v[30:31]
	v_fma_f64 v[30:31], v[168:169], v[175:176], -v[177:178]
	v_add_f64 v[22:23], v[195:196], v[142:143]
	v_add_f64 v[20:21], v[128:129], v[20:21]
	;; [unrolled: 1-line block ×5, first 2 shown]
	v_add3_u32 v85, 0, v84, v172
	v_lshrrev_b32_e32 v84, 1, v170
	v_add_f64 v[86:87], v[181:182], v[150:151]
	ds_store_2addr_b64 v85, v[8:9], v[12:13] offset0:4 offset1:6
	ds_store_2addr_b64 v85, v[14:15], v[22:23] offset0:8 offset1:10
	;; [unrolled: 1-line block ×4, first 2 shown]
	ds_store_2addr_b64 v85, v[86:87], v[6:7] offset1:2
	ds_store_b64 v85, v[96:97] offset:160
	s_and_saveexec_b32 s1, s0
	s_cbranch_execz .LBB0_16
; %bb.15:
	v_add_f64 v[6:7], v[4:5], v[64:65]
	v_add_f64 v[8:9], v[66:67], -v[30:31]
	v_add_f64 v[10:11], v[60:61], -v[28:29]
	v_add_f64 v[12:13], v[64:65], v[34:35]
	v_add_f64 v[22:23], v[62:63], -v[32:33]
	v_add_f64 v[86:87], v[40:41], v[68:69]
	v_add_f64 v[114:115], v[54:55], v[38:39]
	;; [unrolled: 1-line block ×3, first 2 shown]
	v_mul_f64 v[14:15], v[8:9], s[14:15]
	v_mul_f64 v[16:17], v[8:9], s[12:13]
	;; [unrolled: 1-line block ×15, first 2 shown]
	v_add_f64 v[6:7], v[6:7], v[54:55]
	v_fma_f64 v[104:105], v[12:13], s[34:35], -v[14:15]
	v_fma_f64 v[14:15], v[12:13], s[34:35], v[14:15]
	v_fma_f64 v[106:107], v[12:13], s[30:31], -v[16:17]
	v_fma_f64 v[16:17], v[12:13], s[30:31], v[16:17]
	v_fma_f64 v[108:109], v[12:13], s[22:23], v[18:19]
	;; [unrolled: 1-line block ×3, first 2 shown]
	v_fma_f64 v[18:19], v[12:13], s[22:23], -v[18:19]
	v_fma_f64 v[20:21], v[12:13], s[24:25], -v[20:21]
	v_fma_f64 v[112:113], v[12:13], s[28:29], v[8:9]
	v_fma_f64 v[8:9], v[12:13], s[28:29], -v[8:9]
	v_add_f64 v[12:13], v[58:59], -v[36:37]
	v_fma_f64 v[126:127], v[86:87], s[28:29], -v[96:97]
	v_fma_f64 v[96:97], v[86:87], s[28:29], v[96:97]
	v_fma_f64 v[128:129], v[86:87], s[22:23], -v[98:99]
	v_fma_f64 v[98:99], v[86:87], s[22:23], v[98:99]
	;; [unrolled: 2-line block ×5, first 2 shown]
	v_fma_f64 v[148:149], v[114:115], s[30:31], -v[116:117]
	v_fma_f64 v[152:153], v[114:115], s[28:29], -v[120:121]
	;; [unrolled: 1-line block ×3, first 2 shown]
	v_fma_f64 v[122:123], v[114:115], s[24:25], v[122:123]
	v_fma_f64 v[164:165], v[114:115], s[34:35], -v[124:125]
	v_fma_f64 v[124:125], v[114:115], s[34:35], v[124:125]
	v_fma_f64 v[116:117], v[114:115], s[30:31], v[116:117]
	;; [unrolled: 1-line block ×3, first 2 shown]
	v_fma_f64 v[166:167], v[114:115], s[22:23], -v[22:23]
	v_fma_f64 v[22:23], v[114:115], s[22:23], v[22:23]
	v_add_f64 v[6:7], v[6:7], v[52:53]
	v_add_f64 v[86:87], v[4:5], v[104:105]
	;; [unrolled: 1-line block ×11, first 2 shown]
	v_add_f64 v[8:9], v[46:47], -v[48:49]
	v_add_f64 v[112:113], v[52:53], v[50:51]
	v_mul_f64 v[140:141], v[12:13], s[26:27]
	v_mul_f64 v[142:143], v[12:13], s[14:15]
	;; [unrolled: 1-line block ×5, first 2 shown]
	v_add_f64 v[6:7], v[6:7], v[42:43]
	v_add_f64 v[86:87], v[126:127], v[86:87]
	;; [unrolled: 1-line block ×12, first 2 shown]
	v_mul_f64 v[104:105], v[8:9], s[10:11]
	v_mul_f64 v[106:107], v[8:9], s[26:27]
	;; [unrolled: 1-line block ×4, first 2 shown]
	v_fma_f64 v[114:115], v[112:113], s[24:25], -v[140:141]
	v_fma_f64 v[128:129], v[112:113], s[34:35], -v[142:143]
	v_fma_f64 v[132:133], v[112:113], s[34:35], v[142:143]
	v_fma_f64 v[138:139], v[112:113], s[28:29], v[144:145]
	;; [unrolled: 1-line block ×4, first 2 shown]
	v_fma_f64 v[136:137], v[112:113], s[28:29], -v[144:145]
	v_fma_f64 v[140:141], v[112:113], s[22:23], -v[146:147]
	v_mul_f64 v[8:9], v[8:9], s[14:15]
	v_fma_f64 v[144:145], v[112:113], s[30:31], -v[12:13]
	v_fma_f64 v[12:13], v[112:113], s[30:31], v[12:13]
	v_add_f64 v[6:7], v[6:7], v[44:45]
	v_add_f64 v[86:87], v[148:149], v[86:87]
	;; [unrolled: 1-line block ×11, first 2 shown]
	v_fma_f64 v[22:23], v[102:103], s[22:23], -v[104:105]
	v_fma_f64 v[112:113], v[102:103], s[24:25], -v[106:107]
	;; [unrolled: 1-line block ×3, first 2 shown]
	v_fma_f64 v[108:109], v[102:103], s[30:31], v[108:109]
	v_fma_f64 v[120:121], v[102:103], s[28:29], -v[110:111]
	v_fma_f64 v[110:111], v[102:103], s[28:29], v[110:111]
	v_fma_f64 v[104:105], v[102:103], s[22:23], v[104:105]
	;; [unrolled: 1-line block ×3, first 2 shown]
	v_fma_f64 v[122:123], v[102:103], s[34:35], -v[8:9]
	v_fma_f64 v[8:9], v[102:103], s[34:35], v[8:9]
	v_add_f64 v[6:7], v[6:7], v[50:51]
	v_add_f64 v[86:87], v[114:115], v[86:87]
	;; [unrolled: 1-line block ×22, first 2 shown]
	v_mul_u32_u24_e32 v10, 22, v84
	s_delay_alu instid0(VALU_DEP_1) | instskip(NEXT) | instid1(VALU_DEP_1)
	v_or_b32_e32 v10, v10, v173
	v_lshlrev_b32_e32 v10, 3, v10
	s_delay_alu instid0(VALU_DEP_1) | instskip(SKIP_1) | instid1(VALU_DEP_1)
	v_add3_u32 v10, 0, v10, v172
	v_add_f64 v[6:7], v[6:7], v[68:69]
	v_add_f64 v[6:7], v[6:7], v[34:35]
	ds_store_2addr_b64 v10, v[96:97], v[86:87] offset0:4 offset1:6
	ds_store_2addr_b64 v10, v[16:17], v[14:15] offset0:8 offset1:10
	;; [unrolled: 1-line block ×4, first 2 shown]
	ds_store_2addr_b64 v10, v[6:7], v[8:9] offset1:2
	ds_store_b64 v10, v[4:5] offset:160
.LBB0_16:
	s_or_b32 exec_lo, exec_lo, s1
	v_add_f64 v[4:5], v[0:1], v[158:159]
	v_add_f64 v[6:7], v[158:159], v[76:77]
	;; [unrolled: 1-line block ×3, first 2 shown]
	v_add_f64 v[10:11], v[56:57], -v[150:151]
	s_mov_b32 s37, 0x3fe82f19
	s_mov_b32 s36, s12
	v_add_f64 v[20:21], v[130:131], v[70:71]
	v_add_f64 v[22:23], v[94:95], -v[134:135]
	s_waitcnt lgkmcnt(0)
	s_barrier
	buffer_gl0_inv
	v_add_f64 v[4:5], v[4:5], v[154:155]
	v_mul_f64 v[12:13], v[6:7], s[28:29]
	v_mul_f64 v[14:15], v[6:7], s[24:25]
	;; [unrolled: 1-line block ×13, first 2 shown]
	v_add_f64 v[4:5], v[4:5], v[130:131]
	v_fma_f64 v[98:99], v[10:11], s[20:21], v[12:13]
	v_fma_f64 v[100:101], v[10:11], s[26:27], v[14:15]
	;; [unrolled: 1-line block ×10, first 2 shown]
	v_add_f64 v[12:13], v[90:91], -v[118:119]
	v_add_f64 v[90:91], v[92:93], v[72:73]
	v_fma_f64 v[114:115], v[22:23], s[26:27], v[56:57]
	v_fma_f64 v[56:57], v[22:23], s[2:3], v[56:57]
	;; [unrolled: 1-line block ×10, first 2 shown]
	v_add_f64 v[4:5], v[4:5], v[92:93]
	v_mul_f64 v[92:93], v[20:21], s[22:23]
	v_mul_f64 v[20:21], v[20:21], s[30:31]
	v_add_f64 v[22:23], v[0:1], v[98:99]
	v_add_f64 v[98:99], v[0:1], v[100:101]
	;; [unrolled: 1-line block ×10, first 2 shown]
	v_add_f64 v[10:11], v[80:81], -v[24:25]
	v_add_f64 v[24:25], v[82:83], v[88:89]
	v_fma_f64 v[126:127], v[12:13], s[14:15], v[108:109]
	v_fma_f64 v[108:109], v[12:13], s[18:19], v[108:109]
	;; [unrolled: 1-line block ×6, first 2 shown]
	v_mul_f64 v[80:81], v[90:91], s[30:31]
	v_mul_f64 v[106:107], v[90:91], s[34:35]
	v_add_f64 v[4:5], v[4:5], v[82:83]
	v_mul_f64 v[82:83], v[90:91], s[22:23]
	v_fma_f64 v[124:125], v[12:13], s[16:17], v[92:93]
	v_fma_f64 v[92:93], v[12:13], s[10:11], v[92:93]
	;; [unrolled: 1-line block ×4, first 2 shown]
	v_add_f64 v[20:21], v[114:115], v[22:23]
	v_add_f64 v[22:23], v[116:117], v[98:99]
	;; [unrolled: 1-line block ×10, first 2 shown]
	v_add_f64 v[16:17], v[26:27], -v[74:75]
	v_mul_f64 v[26:27], v[24:25], s[34:35]
	v_mul_f64 v[56:57], v[24:25], s[28:29]
	;; [unrolled: 1-line block ×3, first 2 shown]
	v_fma_f64 v[94:95], v[10:11], s[36:37], v[80:81]
	v_fma_f64 v[80:81], v[10:11], s[12:13], v[80:81]
	;; [unrolled: 1-line block ×4, first 2 shown]
	v_add_f64 v[4:5], v[4:5], v[88:89]
	v_mul_f64 v[88:89], v[90:91], s[28:29]
	v_mul_f64 v[90:91], v[90:91], s[24:25]
	v_fma_f64 v[100:101], v[10:11], s[10:11], v[82:83]
	v_fma_f64 v[82:83], v[10:11], s[16:17], v[82:83]
	v_add_f64 v[20:21], v[124:125], v[20:21]
	v_add_f64 v[22:23], v[126:127], v[22:23]
	;; [unrolled: 1-line block ×9, first 2 shown]
	v_fma_f64 v[12:13], v[16:17], s[18:19], v[26:27]
	v_fma_f64 v[26:27], v[16:17], s[14:15], v[26:27]
	v_add_f64 v[4:5], v[4:5], v[72:73]
	v_mul_f64 v[72:73], v[24:25], s[30:31]
	v_mul_f64 v[24:25], v[24:25], s[22:23]
	v_fma_f64 v[102:103], v[10:11], s[20:21], v[88:89]
	v_fma_f64 v[88:89], v[10:11], s[6:7], v[88:89]
	;; [unrolled: 1-line block ×4, first 2 shown]
	v_add_f64 v[90:91], v[130:131], v[98:99]
	v_fma_f64 v[98:99], v[16:17], s[2:3], v[74:75]
	v_fma_f64 v[74:75], v[16:17], s[26:27], v[74:75]
	v_add_f64 v[22:23], v[100:101], v[22:23]
	v_add_f64 v[14:15], v[82:83], v[14:15]
	;; [unrolled: 1-line block ×6, first 2 shown]
	v_fma_f64 v[70:71], v[16:17], s[6:7], v[56:57]
	v_fma_f64 v[56:57], v[16:17], s[20:21], v[56:57]
	;; [unrolled: 1-line block ×6, first 2 shown]
	v_add_f64 v[24:25], v[102:103], v[86:87]
	v_add_f64 v[82:83], v[104:105], v[90:91]
	;; [unrolled: 1-line block ×9, first 2 shown]
	v_add_nc_u32_e32 v70, 0x400, v161
	v_add_nc_u32_e32 v71, 0x800, v161
	v_add_f64 v[90:91], v[92:93], v[24:25]
	v_add_f64 v[82:83], v[98:99], v[82:83]
	;; [unrolled: 1-line block ×7, first 2 shown]
	v_add_nc_u32_e32 v72, 0x1000, v161
	v_add_nc_u32_e32 v73, 0x1400, v161
	;; [unrolled: 1-line block ×3, first 2 shown]
	v_add_f64 v[75:76], v[4:5], v[76:77]
	ds_load_2addr_b64 v[4:7], v161 offset0:77 offset1:154
	ds_load_b64 v[0:1], v171
	ds_load_b64 v[56:57], v161 offset:8008
	ds_load_2addr_b64 v[20:23], v70 offset0:103 offset1:180
	ds_load_2addr_b64 v[16:19], v71 offset0:129 offset1:206
	;; [unrolled: 1-line block ×5, first 2 shown]
	s_waitcnt lgkmcnt(0)
	s_barrier
	buffer_gl0_inv
	ds_store_2addr_b64 v85, v[80:81], v[90:91] offset0:4 offset1:6
	ds_store_2addr_b64 v85, v[82:83], v[86:87] offset0:8 offset1:10
	;; [unrolled: 1-line block ×4, first 2 shown]
	ds_store_2addr_b64 v85, v[75:76], v[78:79] offset1:2
	ds_store_b64 v85, v[98:99] offset:160
	s_and_saveexec_b32 s33, s0
	s_cbranch_execz .LBB0_18
; %bb.17:
	v_add_f64 v[75:76], v[2:3], v[66:67]
	v_add_f64 v[66:67], v[66:67], v[30:31]
	s_mov_b32 s24, 0x8764f0ba
	s_mov_b32 s20, 0xd9c712b6
	s_mov_b32 s18, 0x640f44db
	s_mov_b32 s25, 0x3feaeb8c
	s_mov_b32 s21, 0x3fda9628
	s_mov_b32 s19, 0xbfc2375f
	s_mov_b32 s22, 0x7f775887
	s_mov_b32 s30, 0x9bcd5057
	s_mov_b32 s23, 0xbfe4f49e
	s_mov_b32 s31, 0xbfeeb42a
	v_add_f64 v[34:35], v[64:65], -v[34:35]
	s_mov_b32 s10, 0xf8bb580b
	s_mov_b32 s0, 0x8eee2c13
	;; [unrolled: 1-line block ×14, first 2 shown]
	v_add_f64 v[40:41], v[40:41], -v[68:69]
	s_mov_b32 s28, s26
	s_mov_b32 s3, 0xbfefac9e
	;; [unrolled: 1-line block ×5, first 2 shown]
	v_add_f64 v[38:39], v[54:55], -v[38:39]
	v_add_f64 v[54:55], v[58:59], v[36:37]
	v_add_f64 v[42:43], v[42:43], -v[44:45]
	v_add_f64 v[75:76], v[75:76], v[60:61]
	v_add_f64 v[60:61], v[60:61], v[28:29]
	v_mul_f64 v[64:65], v[66:67], s[24:25]
	v_mul_f64 v[77:78], v[66:67], s[20:21]
	;; [unrolled: 1-line block ×5, first 2 shown]
	v_add_f64 v[75:76], v[75:76], v[62:63]
	v_add_f64 v[62:63], v[62:63], v[32:33]
	v_mul_f64 v[68:69], v[60:61], s[20:21]
	v_mul_f64 v[85:86], v[60:61], s[22:23]
	;; [unrolled: 1-line block ×5, first 2 shown]
	v_fma_f64 v[91:92], v[34:35], s[10:11], v[64:65]
	v_fma_f64 v[93:94], v[34:35], s[0:1], v[77:78]
	;; [unrolled: 1-line block ×10, first 2 shown]
	v_add_f64 v[75:76], v[75:76], v[58:59]
	v_mul_f64 v[58:59], v[62:63], s[18:19]
	v_mul_f64 v[64:65], v[62:63], s[30:31]
	;; [unrolled: 1-line block ×5, first 2 shown]
	v_fma_f64 v[105:106], v[40:41], s[0:1], v[68:69]
	v_fma_f64 v[68:69], v[40:41], s[12:13], v[68:69]
	;; [unrolled: 1-line block ×10, first 2 shown]
	v_add_f64 v[60:61], v[2:3], v[91:92]
	v_add_f64 v[91:92], v[2:3], v[93:94]
	;; [unrolled: 1-line block ×10, first 2 shown]
	v_add_f64 v[34:35], v[52:53], -v[50:51]
	v_mul_f64 v[50:51], v[54:55], s[18:19]
	v_mul_f64 v[52:53], v[54:55], s[24:25]
	;; [unrolled: 1-line block ×3, first 2 shown]
	v_add_f64 v[75:76], v[75:76], v[46:47]
	v_add_f64 v[46:47], v[46:47], v[48:49]
	v_fma_f64 v[115:116], v[38:39], s[6:7], v[58:59]
	v_fma_f64 v[58:59], v[38:39], s[2:3], v[58:59]
	v_fma_f64 v[117:118], v[38:39], s[28:29], v[64:65]
	v_fma_f64 v[64:65], v[38:39], s[26:27], v[64:65]
	v_fma_f64 v[119:120], v[38:39], s[12:13], v[101:102]
	v_fma_f64 v[101:102], v[38:39], s[0:1], v[101:102]
	v_fma_f64 v[121:122], v[38:39], s[10:11], v[103:104]
	v_fma_f64 v[103:104], v[38:39], s[14:15], v[103:104]
	v_fma_f64 v[123:124], v[38:39], s[36:37], v[62:63]
	v_fma_f64 v[38:39], v[38:39], s[16:17], v[62:63]
	v_add_f64 v[60:61], v[105:106], v[60:61]
	v_add_f64 v[62:63], v[107:108], v[91:92]
	;; [unrolled: 1-line block ×10, first 2 shown]
	v_fma_f64 v[93:94], v[34:35], s[2:3], v[50:51]
	v_fma_f64 v[50:51], v[34:35], s[6:7], v[50:51]
	;; [unrolled: 1-line block ×6, first 2 shown]
	v_add_f64 v[75:76], v[75:76], v[48:49]
	v_mul_f64 v[48:49], v[54:55], s[22:23]
	v_mul_f64 v[54:55], v[54:55], s[20:21]
	;; [unrolled: 1-line block ×5, first 2 shown]
	v_add_f64 v[81:82], v[103:104], v[81:82]
	v_add_f64 v[38:39], v[38:39], v[40:41]
	v_add_f64 v[40:41], v[101:102], v[66:67]
	v_add_f64 v[2:3], v[58:59], v[2:3]
	v_add_f64 v[36:37], v[75:76], v[36:37]
	v_mul_f64 v[75:76], v[46:47], s[22:23]
	v_mul_f64 v[46:47], v[46:47], s[18:19]
	v_fma_f64 v[87:88], v[34:35], s[36:37], v[48:49]
	v_fma_f64 v[48:49], v[34:35], s[16:17], v[48:49]
	;; [unrolled: 1-line block ×4, first 2 shown]
	v_add_f64 v[54:55], v[115:116], v[60:61]
	v_add_f64 v[60:61], v[117:118], v[62:63]
	;; [unrolled: 1-line block ×6, first 2 shown]
	v_fma_f64 v[58:59], v[42:43], s[14:15], v[68:69]
	v_fma_f64 v[66:67], v[42:43], s[10:11], v[68:69]
	;; [unrolled: 1-line block ×4, first 2 shown]
	v_add_f64 v[32:33], v[36:37], v[32:33]
	v_fma_f64 v[36:37], v[42:43], s[26:27], v[44:45]
	v_fma_f64 v[44:45], v[42:43], s[28:29], v[44:45]
	;; [unrolled: 1-line block ×6, first 2 shown]
	v_add_f64 v[46:47], v[87:88], v[54:55]
	v_add_f64 v[54:55], v[93:94], v[60:61]
	;; [unrolled: 1-line block ×22, first 2 shown]
	v_mul_u32_u24_e32 v30, 22, v84
	s_delay_alu instid0(VALU_DEP_1) | instskip(NEXT) | instid1(VALU_DEP_1)
	v_or_b32_e32 v30, v30, v173
	v_lshlrev_b32_e32 v30, 3, v30
	s_delay_alu instid0(VALU_DEP_1)
	v_add3_u32 v30, 0, v30, v172
	ds_store_2addr_b64 v30, v[36:37], v[46:47] offset0:4 offset1:6
	ds_store_2addr_b64 v30, v[48:49], v[52:53] offset0:8 offset1:10
	;; [unrolled: 1-line block ×4, first 2 shown]
	ds_store_2addr_b64 v30, v[28:29], v[32:33] offset1:2
	ds_store_b64 v30, v[2:3] offset:160
.LBB0_18:
	s_or_b32 exec_lo, exec_lo, s33
	v_lshrrev_b16 v2, 1, v160
	v_lshrrev_b16 v3, 1, v170
	s_waitcnt lgkmcnt(0)
	s_barrier
	buffer_gl0_inv
	v_and_b32_e32 v2, 0x7f, v2
	v_and_b32_e32 v3, 0x7f, v3
	s_mov_b32 s20, 0x37e14327
	s_mov_b32 s22, 0xe976ee23
	;; [unrolled: 1-line block ×3, first 2 shown]
	v_mul_lo_u16 v2, 0xbb, v2
	s_mov_b32 s10, 0x36b3c0b5
	s_mov_b32 s23, 0x3fe11646
	;; [unrolled: 1-line block ×4, first 2 shown]
	v_lshrrev_b16 v129, 11, v2
	v_mul_lo_u16 v2, 0xbb, v3
	s_mov_b32 s3, 0xbfebfeb5
	s_mov_b32 s6, 0xaaaaaaaa
	;; [unrolled: 1-line block ×3, first 2 shown]
	v_mul_lo_u16 v3, v129, 22
	v_lshrrev_b16 v130, 11, v2
	s_mov_b32 s7, 0xbff2aaaa
	s_mov_b32 s12, 0x5476071b
	;; [unrolled: 1-line block ×3, first 2 shown]
	v_sub_nc_u16 v2, v160, v3
	v_mul_lo_u16 v3, v130, 22
	s_mov_b32 s13, 0x3fe77f67
	s_mov_b32 s15, 0xbfe77f67
	;; [unrolled: 1-line block ×3, first 2 shown]
	v_and_b32_e32 v131, 0xff, v2
	v_sub_nc_u16 v2, v170, v3
	s_mov_b32 s14, s12
	s_mov_b32 s18, s16
	;; [unrolled: 1-line block ×3, first 2 shown]
	v_mul_u32_u24_e32 v3, 6, v131
	v_and_b32_e32 v132, 0xff, v2
	s_mov_b32 s1, 0xbfdc38aa
	s_delay_alu instid0(VALU_DEP_2) | instskip(NEXT) | instid1(VALU_DEP_2)
	v_lshlrev_b32_e32 v2, 4, v3
	v_mul_u32_u24_e32 v3, 6, v132
	s_clause 0x1
	global_load_b128 v[28:31], v2, s[4:5] offset:336
	global_load_b128 v[32:35], v2, s[4:5] offset:320
	v_lshlrev_b32_e32 v3, 4, v3
	s_clause 0x9
	global_load_b128 v[36:39], v2, s[4:5] offset:400
	global_load_b128 v[40:43], v2, s[4:5] offset:384
	;; [unrolled: 1-line block ×10, first 2 shown]
	ds_load_2addr_b64 v[83:86], v161 offset0:77 offset1:154
	ds_load_2addr_b64 v[87:90], v70 offset0:103 offset1:180
	ds_load_2addr_b64 v[91:94], v74 offset0:79 offset1:156
	ds_load_2addr_b64 v[95:98], v73 offset0:53 offset1:130
	ds_load_2addr_b64 v[99:102], v71 offset0:129 offset1:206
	ds_load_b64 v[2:3], v161 offset:8008
	ds_load_2addr_b64 v[103:106], v72 offset0:27 offset1:104
	s_waitcnt vmcnt(9) lgkmcnt(4)
	v_mul_f64 v[111:112], v[93:94], v[38:39]
	s_waitcnt vmcnt(8) lgkmcnt(3)
	v_mul_f64 v[113:114], v[97:98], v[42:43]
	s_waitcnt vmcnt(7)
	v_mul_f64 v[115:116], v[87:88], v[46:47]
	s_waitcnt vmcnt(6) lgkmcnt(2)
	v_mul_f64 v[117:118], v[99:100], v[50:51]
	v_mul_f64 v[109:110], v[89:90], v[30:31]
	;; [unrolled: 1-line block ×3, first 2 shown]
	s_waitcnt vmcnt(5) lgkmcnt(1)
	v_mul_f64 v[119:120], v[2:3], v[54:55]
	s_waitcnt vmcnt(4)
	v_mul_f64 v[121:122], v[91:92], v[60:61]
	v_mul_f64 v[34:35], v[6:7], v[34:35]
	v_mul_f64 v[30:31], v[22:23], v[30:31]
	v_mul_f64 v[38:39], v[26:27], v[38:39]
	v_mul_f64 v[42:43], v[10:11], v[42:43]
	v_mul_f64 v[46:47], v[20:21], v[46:47]
	v_mul_f64 v[50:51], v[16:17], v[50:51]
	v_mul_f64 v[54:55], v[56:57], v[54:55]
	v_mul_f64 v[60:61], v[24:25], v[60:61]
	s_waitcnt vmcnt(3)
	v_mul_f64 v[123:124], v[101:102], v[64:65]
	v_mul_f64 v[64:65], v[18:19], v[64:65]
	s_waitcnt vmcnt(2) lgkmcnt(0)
	v_mul_f64 v[125:126], v[105:106], v[68:69]
	v_mul_f64 v[68:69], v[14:15], v[68:69]
	s_waitcnt vmcnt(1)
	v_mul_f64 v[127:128], v[103:104], v[77:78]
	v_mul_f64 v[77:78], v[12:13], v[77:78]
	v_fma_f64 v[26:27], v[26:27], v[36:37], v[111:112]
	v_fma_f64 v[10:11], v[10:11], v[40:41], v[113:114]
	;; [unrolled: 1-line block ×6, first 2 shown]
	s_waitcnt vmcnt(0)
	v_mul_f64 v[107:108], v[95:96], v[81:82]
	v_mul_f64 v[81:82], v[8:9], v[81:82]
	v_fma_f64 v[56:57], v[56:57], v[52:53], v[119:120]
	v_fma_f64 v[24:25], v[24:25], v[58:59], v[121:122]
	v_fma_f64 v[32:33], v[85:86], v[32:33], -v[34:35]
	v_fma_f64 v[28:29], v[89:90], v[28:29], -v[30:31]
	;; [unrolled: 1-line block ×8, first 2 shown]
	v_fma_f64 v[18:19], v[18:19], v[62:63], v[123:124]
	v_fma_f64 v[36:37], v[101:102], v[62:63], -v[64:65]
	v_fma_f64 v[14:15], v[14:15], v[66:67], v[125:126]
	v_fma_f64 v[44:45], v[105:106], v[66:67], -v[68:69]
	;; [unrolled: 2-line block ×3, first 2 shown]
	ds_load_b64 v[77:78], v171
	s_waitcnt lgkmcnt(0)
	s_barrier
	buffer_gl0_inv
	v_add_f64 v[50:51], v[22:23], v[10:11]
	v_add_f64 v[48:49], v[6:7], v[26:27]
	v_fma_f64 v[8:9], v[8:9], v[79:80], v[107:108]
	v_fma_f64 v[52:53], v[95:96], v[79:80], -v[81:82]
	v_add_f64 v[54:55], v[20:21], v[56:57]
	v_add_f64 v[58:59], v[16:17], v[24:25]
	v_add_f64 v[10:11], v[22:23], -v[10:11]
	v_add_f64 v[6:7], v[6:7], -v[26:27]
	v_add_f64 v[60:61], v[32:33], v[30:31]
	v_add_f64 v[62:63], v[28:29], v[34:35]
	v_add_f64 v[28:29], v[28:29], -v[34:35]
	v_add_f64 v[30:31], v[32:33], -v[30:31]
	;; [unrolled: 4-line block ×3, first 2 shown]
	v_add_f64 v[64:65], v[18:19], v[14:15]
	v_add_f64 v[34:35], v[44:45], -v[36:37]
	v_add_f64 v[36:37], v[36:37], v[44:45]
	v_add_f64 v[14:15], v[14:15], -v[18:19]
	v_add_f64 v[16:17], v[16:17], -v[24:25]
	v_add_f64 v[40:41], v[50:51], v[48:49]
	v_add_f64 v[42:43], v[12:13], v[8:9]
	v_add_f64 v[75:76], v[52:53], -v[46:47]
	v_add_f64 v[22:23], v[46:47], v[52:53]
	v_add_f64 v[38:39], v[58:59], v[54:55]
	v_add_f64 v[8:9], v[8:9], -v[12:13]
	v_add_f64 v[12:13], v[20:21], -v[56:57]
	;; [unrolled: 1-line block ×3, first 2 shown]
	v_add_f64 v[18:19], v[62:63], v[60:61]
	v_add_f64 v[46:47], v[28:29], -v[30:31]
	v_add_f64 v[24:25], v[68:69], v[66:67]
	v_add_f64 v[20:21], v[48:49], -v[64:65]
	v_add_f64 v[44:45], v[34:35], -v[28:29]
	;; [unrolled: 1-line block ×5, first 2 shown]
	v_add_f64 v[28:29], v[34:35], v[28:29]
	v_add_f64 v[81:82], v[14:15], -v[10:11]
	v_add_f64 v[79:80], v[36:37], -v[62:63]
	v_add_f64 v[34:35], v[30:31], -v[34:35]
	v_add_f64 v[10:11], v[14:15], v[10:11]
	v_add_f64 v[14:15], v[6:7], -v[14:15]
	v_add_f64 v[60:61], v[62:63], -v[60:61]
	v_add_f64 v[62:63], v[68:69], -v[66:67]
	;; [unrolled: 4-line block ×3, first 2 shown]
	v_add_f64 v[38:39], v[42:43], v[38:39]
	v_add_f64 v[42:43], v[42:43], -v[58:59]
	v_add_f64 v[32:33], v[75:76], v[32:33]
	v_add_f64 v[87:88], v[22:23], -v[68:69]
	;; [unrolled: 2-line block ×3, first 2 shown]
	v_add_f64 v[89:90], v[8:9], -v[16:17]
	v_add_f64 v[91:92], v[16:17], -v[12:13]
	v_add_f64 v[22:23], v[22:23], v[24:25]
	v_mul_f64 v[93:94], v[46:47], s[2:3]
	v_add_f64 v[75:76], v[2:3], -v[75:76]
	v_mul_f64 v[20:21], v[20:21], s[20:21]
	v_mul_f64 v[44:45], v[44:45], s[22:23]
	;; [unrolled: 1-line block ×3, first 2 shown]
	v_add_f64 v[54:55], v[58:59], -v[54:55]
	v_add_f64 v[16:17], v[8:9], v[16:17]
	v_mul_f64 v[50:51], v[50:51], s[20:21]
	v_add_f64 v[28:29], v[28:29], v[30:31]
	v_mul_f64 v[30:31], v[81:82], s[22:23]
	v_mul_f64 v[66:67], v[79:80], s[10:11]
	;; [unrolled: 1-line block ×3, first 2 shown]
	v_add_f64 v[8:9], v[12:13], -v[8:9]
	v_add_f64 v[6:7], v[10:11], v[6:7]
	v_add_f64 v[0:1], v[0:1], v[40:41]
	v_mul_f64 v[52:53], v[52:53], s[20:21]
	v_mul_f64 v[56:57], v[56:57], s[22:23]
	;; [unrolled: 1-line block ×3, first 2 shown]
	v_add_f64 v[4:5], v[4:5], v[38:39]
	v_mul_f64 v[58:59], v[42:43], s[10:11]
	v_add_f64 v[2:3], v[32:33], v[2:3]
	v_add_f64 v[32:33], v[77:78], v[18:19]
	v_mul_f64 v[36:37], v[36:37], s[20:21]
	v_mul_f64 v[81:82], v[89:90], s[22:23]
	;; [unrolled: 1-line block ×3, first 2 shown]
	v_add_f64 v[83:84], v[83:84], v[22:23]
	v_mul_f64 v[77:78], v[87:88], s[10:11]
	v_fma_f64 v[26:27], v[26:27], s[10:11], v[20:21]
	v_fma_f64 v[97:98], v[34:35], s[16:17], v[44:45]
	v_fma_f64 v[24:25], v[48:49], s[12:13], -v[24:25]
	v_fma_f64 v[44:45], v[46:47], s[2:3], -v[44:45]
	;; [unrolled: 1-line block ×4, first 2 shown]
	v_add_f64 v[10:11], v[16:17], v[12:13]
	v_fma_f64 v[12:13], v[79:80], s[10:11], v[50:51]
	v_fma_f64 v[16:17], v[60:61], s[12:13], -v[66:67]
	v_fma_f64 v[50:51], v[60:61], s[14:15], -v[50:51]
	v_fma_f64 v[40:41], v[40:41], s[6:7], v[0:1]
	v_fma_f64 v[42:43], v[42:43], s[10:11], v[52:53]
	;; [unrolled: 1-line block ×3, first 2 shown]
	v_fma_f64 v[48:49], v[64:65], s[2:3], -v[56:57]
	v_fma_f64 v[38:39], v[38:39], s[6:7], v[4:5]
	v_fma_f64 v[56:57], v[75:76], s[18:19], -v[95:96]
	v_fma_f64 v[52:53], v[54:55], s[14:15], -v[52:53]
	v_fma_f64 v[54:55], v[54:55], s[12:13], -v[58:59]
	v_fma_f64 v[58:59], v[14:15], s[16:17], v[30:31]
	v_fma_f64 v[18:19], v[18:19], s[6:7], v[32:33]
	v_fma_f64 v[30:31], v[85:86], s[2:3], -v[30:31]
	v_fma_f64 v[14:15], v[14:15], s[18:19], -v[68:69]
	v_fma_f64 v[60:61], v[87:88], s[10:11], v[36:37]
	v_fma_f64 v[66:67], v[8:9], s[16:17], v[81:82]
	v_fma_f64 v[68:69], v[91:92], s[2:3], -v[81:82]
	v_fma_f64 v[8:9], v[8:9], s[18:19], -v[89:90]
	v_fma_f64 v[22:23], v[22:23], s[6:7], v[83:84]
	v_fma_f64 v[64:65], v[62:63], s[12:13], -v[77:78]
	v_fma_f64 v[36:37], v[62:63], s[14:15], -v[36:37]
	v_fma_f64 v[62:63], v[28:29], s[0:1], v[97:98]
	v_fma_f64 v[44:45], v[28:29], s[0:1], v[44:45]
	;; [unrolled: 1-line block ×3, first 2 shown]
	v_add_f64 v[26:27], v[26:27], v[40:41]
	v_add_f64 v[20:21], v[20:21], v[40:41]
	v_add_f64 v[24:25], v[24:25], v[40:41]
	v_fma_f64 v[34:35], v[2:3], s[0:1], v[46:47]
	v_add_f64 v[42:43], v[42:43], v[38:39]
	v_fma_f64 v[40:41], v[2:3], s[0:1], v[48:49]
	v_fma_f64 v[2:3], v[2:3], s[0:1], v[56:57]
	v_add_f64 v[46:47], v[52:53], v[38:39]
	v_add_f64 v[38:39], v[54:55], v[38:39]
	v_fma_f64 v[48:49], v[6:7], s[0:1], v[58:59]
	v_add_f64 v[12:13], v[12:13], v[18:19]
	v_fma_f64 v[30:31], v[6:7], s[0:1], v[30:31]
	v_fma_f64 v[6:7], v[6:7], s[0:1], v[14:15]
	v_add_f64 v[14:15], v[50:51], v[18:19]
	v_add_f64 v[16:17], v[16:17], v[18:19]
	v_fma_f64 v[18:19], v[10:11], s[0:1], v[66:67]
	v_fma_f64 v[50:51], v[10:11], s[0:1], v[68:69]
	;; [unrolled: 1-line block ×3, first 2 shown]
	v_add_f64 v[10:11], v[60:61], v[22:23]
	v_add_f64 v[36:37], v[36:37], v[22:23]
	v_add_f64 v[22:23], v[64:65], v[22:23]
	v_add_f64 v[52:53], v[62:63], v[26:27]
	v_add_f64 v[54:55], v[28:29], v[20:21]
	v_add_f64 v[56:57], v[24:25], -v[44:45]
	v_add_f64 v[24:25], v[44:45], v[24:25]
	v_add_f64 v[20:21], v[20:21], -v[28:29]
	v_add_f64 v[26:27], v[26:27], -v[62:63]
	v_add_f64 v[28:29], v[34:35], v[42:43]
	v_add_f64 v[44:45], v[2:3], v[46:47]
	v_add_f64 v[58:59], v[38:39], -v[40:41]
	v_add_f64 v[38:39], v[40:41], v[38:39]
	v_add_f64 v[2:3], v[46:47], -v[2:3]
	v_add_f64 v[34:35], v[42:43], -v[34:35]
	v_and_b32_e32 v40, 0xffff, v129
	v_and_b32_e32 v41, 0xffff, v130
	v_lshlrev_b32_e32 v42, 3, v131
	v_lshlrev_b32_e32 v43, 3, v132
	v_add_f64 v[46:47], v[30:31], v[16:17]
	v_mad_u32_u24 v40, 0x4d0, v40, 0
	v_mad_u32_u24 v41, 0x4d0, v41, 0
	v_add_f64 v[30:31], v[16:17], -v[30:31]
	v_add_f64 v[60:61], v[6:7], v[14:15]
	v_add_f64 v[62:63], v[10:11], -v[18:19]
	v_add3_u32 v75, v40, v42, v172
	v_add3_u32 v76, v41, v43, v172
	v_add_f64 v[40:41], v[12:13], -v[48:49]
	v_add_f64 v[42:43], v[14:15], -v[6:7]
	v_add_f64 v[48:49], v[48:49], v[12:13]
	v_add_f64 v[64:65], v[36:37], -v[8:9]
	v_add_f64 v[66:67], v[50:51], v[22:23]
	v_add_f64 v[50:51], v[22:23], -v[50:51]
	v_add_f64 v[36:37], v[8:9], v[36:37]
	v_add_f64 v[68:69], v[18:19], v[10:11]
	ds_store_2addr_b64 v75, v[0:1], v[52:53] offset1:22
	ds_store_2addr_b64 v75, v[54:55], v[56:57] offset0:44 offset1:66
	ds_store_2addr_b64 v75, v[24:25], v[20:21] offset0:88 offset1:110
	ds_store_b64 v75, v[26:27] offset:1056
	ds_store_2addr_b64 v76, v[4:5], v[28:29] offset1:22
	ds_store_2addr_b64 v76, v[44:45], v[58:59] offset0:44 offset1:66
	ds_store_2addr_b64 v76, v[38:39], v[2:3] offset0:88 offset1:110
	ds_store_b64 v76, v[34:35] offset:1056
	s_waitcnt lgkmcnt(0)
	s_barrier
	buffer_gl0_inv
	ds_load_2addr_b64 v[0:3], v161 offset0:77 offset1:154
	ds_load_2addr_b64 v[16:19], v70 offset0:103 offset1:180
	;; [unrolled: 1-line block ×6, first 2 shown]
	ds_load_b64 v[24:25], v171
	ds_load_b64 v[26:27], v161 offset:8008
	s_waitcnt lgkmcnt(0)
	s_barrier
	buffer_gl0_inv
	ds_store_2addr_b64 v75, v[32:33], v[40:41] offset1:22
	ds_store_2addr_b64 v75, v[42:43], v[46:47] offset0:44 offset1:66
	ds_store_2addr_b64 v75, v[30:31], v[60:61] offset0:88 offset1:110
	ds_store_b64 v75, v[48:49] offset:1056
	ds_store_2addr_b64 v76, v[83:84], v[62:63] offset1:22
	ds_store_2addr_b64 v76, v[64:65], v[66:67] offset0:44 offset1:66
	ds_store_2addr_b64 v76, v[50:51], v[36:37] offset0:88 offset1:110
	ds_store_b64 v76, v[68:69] offset:1056
	s_waitcnt lgkmcnt(0)
	s_barrier
	buffer_gl0_inv
	s_and_saveexec_b32 s24, vcc_lo
	s_cbranch_execz .LBB0_20
; %bb.19:
	v_mul_u32_u24_e32 v28, 6, v170
	v_mul_u32_u24_e32 v29, 6, v160
	v_add_nc_u32_e32 v76, 0x800, v161
	v_add_nc_u32_e32 v80, 0x1800, v161
	v_add_nc_u32_e32 v116, 0x1400, v161
	v_lshlrev_b32_e32 v64, 4, v28
	v_lshlrev_b32_e32 v72, 4, v29
	v_add_nc_u32_e32 v84, 0x400, v161
	s_clause 0xb
	global_load_b128 v[28:31], v64, s[4:5] offset:2448
	global_load_b128 v[32:35], v64, s[4:5] offset:2496
	;; [unrolled: 1-line block ×12, first 2 shown]
	ds_load_2addr_b64 v[76:79], v76 offset0:129 offset1:206
	ds_load_2addr_b64 v[80:83], v80 offset0:79 offset1:156
	;; [unrolled: 1-line block ×3, first 2 shown]
	s_waitcnt vmcnt(11)
	v_mul_f64 v[88:89], v[8:9], v[30:31]
	s_waitcnt vmcnt(10)
	v_mul_f64 v[90:91], v[20:21], v[34:35]
	;; [unrolled: 2-line block ×8, first 2 shown]
	v_mul_f64 v[104:105], v[18:19], v[44:45]
	v_mul_f64 v[106:107], v[14:15], v[48:49]
	;; [unrolled: 1-line block ×8, first 2 shown]
	ds_load_b64 v[114:115], v161 offset:8008
	ds_load_2addr_b64 v[14:17], v116 offset0:53 offset1:130
	ds_load_2addr_b64 v[18:21], v161 offset0:77 offset1:154
	s_waitcnt vmcnt(3)
	v_mul_f64 v[118:119], v[12:13], v[60:61]
	s_waitcnt vmcnt(2)
	v_mul_f64 v[120:121], v[4:5], v[64:65]
	v_mul_f64 v[122:123], v[4:5], v[66:67]
	;; [unrolled: 1-line block ×3, first 2 shown]
	s_waitcnt vmcnt(1)
	v_mul_f64 v[124:125], v[6:7], v[68:69]
	s_waitcnt vmcnt(0)
	v_mul_f64 v[126:127], v[10:11], v[72:73]
	v_mul_f64 v[10:11], v[10:11], v[74:75]
	;; [unrolled: 1-line block ×3, first 2 shown]
	v_dual_mov_b32 v161, 0 :: v_dual_add_nc_u32 v2, 0x1000, v161
	ds_load_b64 v[116:117], v171
	ds_load_2addr_b64 v[2:5], v2 offset0:27 offset1:104
	s_waitcnt lgkmcnt(7)
	v_fma_f64 v[28:29], v[76:77], v[28:29], -v[88:89]
	s_waitcnt lgkmcnt(6)
	v_fma_f64 v[32:33], v[80:81], v[32:33], -v[90:91]
	;; [unrolled: 2-line block ×4, first 2 shown]
	v_fma_f64 v[44:45], v[86:87], v[44:45], -v[96:97]
	s_waitcnt lgkmcnt(3)
	v_fma_f64 v[48:49], v[16:17], v[48:49], -v[98:99]
	s_waitcnt lgkmcnt(2)
	v_fma_f64 v[52:53], v[20:21], v[52:53], -v[100:101]
	v_fma_f64 v[56:57], v[82:83], v[56:57], -v[102:103]
	v_fma_f64 v[46:47], v[86:87], v[46:47], v[104:105]
	v_fma_f64 v[16:17], v[16:17], v[50:51], v[106:107]
	;; [unrolled: 1-line block ×9, first 2 shown]
	s_waitcnt lgkmcnt(0)
	v_fma_f64 v[42:43], v[2:3], v[66:67], v[120:121]
	v_fma_f64 v[2:3], v[2:3], v[64:65], -v[122:123]
	v_fma_f64 v[12:13], v[14:15], v[60:61], -v[12:13]
	v_fma_f64 v[14:15], v[4:5], v[70:71], v[124:125]
	v_fma_f64 v[50:51], v[78:79], v[74:75], v[126:127]
	v_fma_f64 v[10:11], v[78:79], v[72:73], -v[10:11]
	v_fma_f64 v[4:5], v[4:5], v[68:69], -v[6:7]
	v_add_f64 v[54:55], v[28:29], v[32:33]
	v_add_f64 v[58:59], v[36:37], v[40:41]
	;; [unrolled: 1-line block ×5, first 2 shown]
	v_add_f64 v[16:17], v[46:47], -v[16:17]
	v_add_f64 v[66:67], v[20:21], v[22:23]
	v_add_f64 v[20:21], v[20:21], -v[22:23]
	v_add_f64 v[68:69], v[8:9], v[30:31]
	;; [unrolled: 2-line block ×3, first 2 shown]
	v_add_f64 v[26:27], v[34:35], -v[26:27]
	v_add_f64 v[6:7], v[38:39], -v[42:43]
	v_add_f64 v[38:39], v[38:39], v[42:43]
	v_add_f64 v[30:31], v[12:13], v[2:3]
	v_add_f64 v[12:13], v[12:13], -v[2:3]
	v_add_f64 v[34:35], v[14:15], -v[50:51]
	v_add_f64 v[14:15], v[14:15], v[50:51]
	v_add_f64 v[72:73], v[4:5], v[10:11]
	v_add_f64 v[4:5], v[4:5], -v[10:11]
	v_add_f64 v[10:11], v[44:45], -v[48:49]
	;; [unrolled: 1-line block ×5, first 2 shown]
	v_add_f64 v[46:47], v[54:55], v[58:59]
	v_add_f64 v[22:23], v[60:61], v[62:63]
	;; [unrolled: 1-line block ×3, first 2 shown]
	v_add_f64 v[74:75], v[16:17], -v[20:21]
	v_add_f64 v[32:33], v[68:69], v[70:71]
	v_add_f64 v[42:43], v[8:9], -v[26:27]
	v_add_f64 v[36:37], v[6:7], -v[8:9]
	v_add_f64 v[80:81], v[70:71], -v[38:39]
	v_add_f64 v[40:41], v[58:59], -v[30:31]
	v_add_f64 v[50:51], v[30:31], -v[54:55]
	v_add_f64 v[52:53], v[34:35], -v[16:17]
	v_add_f64 v[56:57], v[66:67], -v[14:15]
	v_add_f64 v[8:9], v[6:7], v[8:9]
	v_add_f64 v[86:87], v[26:27], -v[6:7]
	v_add_f64 v[76:77], v[4:5], -v[10:11]
	;; [unrolled: 1-line block ×5, first 2 shown]
	v_add_f64 v[88:89], v[12:13], v[2:3]
	v_add_f64 v[16:17], v[34:35], v[16:17]
	;; [unrolled: 1-line block ×3, first 2 shown]
	v_add_f64 v[54:55], v[54:55], -v[58:59]
	v_add_f64 v[34:35], v[20:21], -v[34:35]
	v_add_f64 v[92:93], v[44:45], -v[4:5]
	v_add_f64 v[12:13], v[28:29], -v[12:13]
	v_add_f64 v[30:31], v[30:31], v[46:47]
	v_add_f64 v[46:47], v[62:63], -v[72:73]
	v_add_f64 v[22:23], v[72:73], v[22:23]
	v_add_f64 v[72:73], v[72:73], -v[60:61]
	v_add_f64 v[60:61], v[60:61], -v[62:63]
	v_add_f64 v[48:49], v[14:15], v[48:49]
	v_add_f64 v[14:15], v[14:15], -v[64:65]
	v_add_f64 v[32:33], v[38:39], v[32:33]
	v_add_f64 v[38:39], v[38:39], -v[68:69]
	v_mul_f64 v[90:91], v[42:43], s[2:3]
	v_mul_f64 v[36:37], v[36:37], s[22:23]
	v_add_f64 v[68:69], v[68:69], -v[70:71]
	v_mul_f64 v[40:41], v[40:41], s[20:21]
	v_mul_f64 v[58:59], v[50:51], s[10:11]
	;; [unrolled: 1-line block ×3, first 2 shown]
	v_add_f64 v[8:9], v[8:9], v[26:27]
	v_mul_f64 v[76:77], v[76:77], s[22:23]
	v_mul_f64 v[94:95], v[78:79], s[2:3]
	v_add_f64 v[26:27], v[88:89], v[28:29]
	v_add_f64 v[16:17], v[16:17], v[20:21]
	;; [unrolled: 1-line block ×4, first 2 shown]
	v_mul_f64 v[18:19], v[46:47], s[20:21]
	v_mul_f64 v[46:47], v[56:57], s[20:21]
	;; [unrolled: 1-line block ×3, first 2 shown]
	v_add_f64 v[6:7], v[116:117], v[22:23]
	v_mul_f64 v[62:63], v[72:73], s[10:11]
	v_add_f64 v[4:5], v[24:25], v[48:49]
	v_add_f64 v[24:25], v[64:65], -v[66:67]
	v_mul_f64 v[64:65], v[14:15], s[10:11]
	v_mul_f64 v[66:67], v[80:81], s[20:21]
	;; [unrolled: 1-line block ×3, first 2 shown]
	v_add_f64 v[0:1], v[0:1], v[32:33]
	v_mul_f64 v[82:83], v[84:85], s[2:3]
	v_mul_f64 v[70:71], v[38:39], s[10:11]
	v_fma_f64 v[20:21], v[86:87], s[16:17], v[36:37]
	v_fma_f64 v[28:29], v[50:51], s[10:11], v[40:41]
	v_fma_f64 v[44:45], v[86:87], s[18:19], -v[90:91]
	v_fma_f64 v[40:41], v[54:55], s[14:15], -v[40:41]
	;; [unrolled: 1-line block ×4, first 2 shown]
	v_fma_f64 v[42:43], v[34:35], s[16:17], v[52:53]
	v_fma_f64 v[58:59], v[92:93], s[16:17], v[76:77]
	v_fma_f64 v[52:53], v[74:75], s[2:3], -v[52:53]
	v_fma_f64 v[30:31], v[30:31], s[6:7], v[2:3]
	v_fma_f64 v[54:55], v[72:73], s[10:11], v[18:19]
	;; [unrolled: 1-line block ×3, first 2 shown]
	v_fma_f64 v[34:35], v[34:35], s[18:19], -v[56:57]
	v_fma_f64 v[22:23], v[22:23], s[6:7], v[6:7]
	v_fma_f64 v[18:19], v[60:61], s[14:15], -v[18:19]
	v_fma_f64 v[56:57], v[60:61], s[12:13], -v[62:63]
	;; [unrolled: 1-line block ×3, first 2 shown]
	v_fma_f64 v[48:49], v[48:49], s[6:7], v[4:5]
	v_fma_f64 v[62:63], v[78:79], s[2:3], -v[76:77]
	v_fma_f64 v[46:47], v[24:25], s[14:15], -v[46:47]
	;; [unrolled: 1-line block ×3, first 2 shown]
	v_fma_f64 v[38:39], v[38:39], s[10:11], v[66:67]
	v_fma_f64 v[64:65], v[12:13], s[16:17], v[80:81]
	;; [unrolled: 1-line block ×3, first 2 shown]
	v_fma_f64 v[12:13], v[12:13], s[18:19], -v[82:83]
	v_fma_f64 v[66:67], v[68:69], s[14:15], -v[66:67]
	;; [unrolled: 1-line block ×4, first 2 shown]
	v_fma_f64 v[20:21], v[8:9], s[0:1], v[20:21]
	v_fma_f64 v[44:45], v[8:9], s[0:1], v[44:45]
	;; [unrolled: 1-line block ×4, first 2 shown]
	v_add_f64 v[70:71], v[28:29], v[30:31]
	v_add_f64 v[28:29], v[40:41], v[30:31]
	;; [unrolled: 1-line block ×3, first 2 shown]
	v_fma_f64 v[40:41], v[16:17], s[0:1], v[34:35]
	v_add_f64 v[50:51], v[54:55], v[22:23]
	v_fma_f64 v[54:55], v[10:11], s[0:1], v[58:59]
	v_add_f64 v[42:43], v[56:57], v[22:23]
	;; [unrolled: 2-line block ×5, first 2 shown]
	v_add_f64 v[24:25], v[24:25], v[48:49]
	v_fma_f64 v[64:65], v[26:27], s[0:1], v[64:65]
	v_add_f64 v[74:75], v[38:39], v[32:33]
	v_fma_f64 v[12:13], v[26:27], s[0:1], v[12:13]
	;; [unrolled: 2-line block ×3, first 2 shown]
	v_add_f64 v[68:69], v[68:69], v[32:33]
	v_mul_hi_u32 v14, 0x3531dec1, v170
	v_lshlrev_b64 v[10:11], 4, v[160:161]
	v_add_co_u32 v15, vcc_lo, s8, v162
	v_add_co_ci_u32_e32 v18, vcc_lo, s9, v163, vcc_lo
	s_delay_alu instid0(VALU_DEP_2) | instskip(SKIP_1) | instid1(VALU_DEP_3)
	v_add_co_u32 v76, vcc_lo, v15, v10
	v_lshrrev_b32_e32 v14, 5, v14
	v_add_co_ci_u32_e32 v77, vcc_lo, v18, v11, vcc_lo
	s_delay_alu instid0(VALU_DEP_3) | instskip(NEXT) | instid1(VALU_DEP_3)
	v_add_co_u32 v78, vcc_lo, 0x1000, v76
	v_mul_u32_u24_e32 v160, 0x39c, v14
	s_delay_alu instid0(VALU_DEP_3)
	v_add_co_ci_u32_e32 v79, vcc_lo, 0, v77, vcc_lo
	v_add_f64 v[10:11], v[20:21], v[70:71]
	v_add_f64 v[14:15], v[44:45], v[28:29]
	v_add_f64 v[18:19], v[30:31], -v[8:9]
	v_add_f64 v[22:23], v[8:9], v[30:31]
	v_add_f64 v[30:31], v[36:37], v[50:51]
	v_add_f64 v[50:51], v[50:51], -v[36:37]
	v_add_f64 v[26:27], v[28:29], -v[44:45]
	v_lshlrev_b64 v[80:81], 4, v[160:161]
	v_add_f64 v[48:49], v[54:55], v[60:61]
	v_add_f64 v[38:39], v[42:43], -v[16:17]
	v_add_f64 v[46:47], v[52:53], -v[40:41]
	v_add_f64 v[34:35], v[40:41], v[52:53]
	v_add_f64 v[44:45], v[56:57], v[62:63]
	;; [unrolled: 1-line block ×3, first 2 shown]
	v_add_f64 v[40:41], v[24:25], -v[58:59]
	v_add_f64 v[36:37], v[58:59], v[24:25]
	v_add_f64 v[32:33], v[62:63], -v[56:57]
	v_add_f64 v[28:29], v[60:61], -v[54:55]
	;; [unrolled: 1-line block ×3, first 2 shown]
	v_add_f64 v[52:53], v[64:65], v[74:75]
	v_add_f64 v[24:25], v[12:13], v[66:67]
	v_add_f64 v[20:21], v[68:69], -v[72:73]
	v_add_f64 v[16:17], v[72:73], v[68:69]
	v_add_f64 v[12:13], v[66:67], -v[12:13]
	v_add_f64 v[8:9], v[74:75], -v[64:65]
	v_add_co_u32 v56, vcc_lo, 0x2000, v76
	v_add_co_ci_u32_e32 v57, vcc_lo, 0, v77, vcc_lo
	v_add_co_u32 v58, vcc_lo, v76, v80
	v_add_co_ci_u32_e32 v59, vcc_lo, v77, v81, vcc_lo
	;; [unrolled: 2-line block ×3, first 2 shown]
	s_delay_alu instid0(VALU_DEP_4) | instskip(NEXT) | instid1(VALU_DEP_4)
	v_add_co_u32 v62, vcc_lo, 0x1000, v58
	v_add_co_ci_u32_e32 v63, vcc_lo, 0, v59, vcc_lo
	v_add_co_u32 v64, vcc_lo, 0x2000, v58
	v_add_co_ci_u32_e32 v65, vcc_lo, 0, v59, vcc_lo
	v_add_co_u32 v66, vcc_lo, 0x3000, v58
	v_add_co_ci_u32_e32 v67, vcc_lo, 0, v59, vcc_lo
	s_clause 0xd
	global_store_b128 v[76:77], v[4:7], off
	global_store_b128 v[76:77], v[48:51], off offset:2464
	global_store_b128 v[78:79], v[44:47], off offset:832
	;; [unrolled: 1-line block ×13, first 2 shown]
.LBB0_20:
	s_nop 0
	s_sendmsg sendmsg(MSG_DEALLOC_VGPRS)
	s_endpgm
	.section	.rodata,"a",@progbits
	.p2align	6, 0x0
	.amdhsa_kernel fft_rtc_back_len1078_factors_2_11_7_7_wgs_231_tpt_77_halfLds_dp_ip_CI_unitstride_sbrr_dirReg
		.amdhsa_group_segment_fixed_size 0
		.amdhsa_private_segment_fixed_size 0
		.amdhsa_kernarg_size 88
		.amdhsa_user_sgpr_count 15
		.amdhsa_user_sgpr_dispatch_ptr 0
		.amdhsa_user_sgpr_queue_ptr 0
		.amdhsa_user_sgpr_kernarg_segment_ptr 1
		.amdhsa_user_sgpr_dispatch_id 0
		.amdhsa_user_sgpr_private_segment_size 0
		.amdhsa_wavefront_size32 1
		.amdhsa_uses_dynamic_stack 0
		.amdhsa_enable_private_segment 0
		.amdhsa_system_sgpr_workgroup_id_x 1
		.amdhsa_system_sgpr_workgroup_id_y 0
		.amdhsa_system_sgpr_workgroup_id_z 0
		.amdhsa_system_sgpr_workgroup_info 0
		.amdhsa_system_vgpr_workitem_id 0
		.amdhsa_next_free_vgpr 197
		.amdhsa_next_free_sgpr 38
		.amdhsa_reserve_vcc 1
		.amdhsa_float_round_mode_32 0
		.amdhsa_float_round_mode_16_64 0
		.amdhsa_float_denorm_mode_32 3
		.amdhsa_float_denorm_mode_16_64 3
		.amdhsa_dx10_clamp 1
		.amdhsa_ieee_mode 1
		.amdhsa_fp16_overflow 0
		.amdhsa_workgroup_processor_mode 1
		.amdhsa_memory_ordered 1
		.amdhsa_forward_progress 0
		.amdhsa_shared_vgpr_count 0
		.amdhsa_exception_fp_ieee_invalid_op 0
		.amdhsa_exception_fp_denorm_src 0
		.amdhsa_exception_fp_ieee_div_zero 0
		.amdhsa_exception_fp_ieee_overflow 0
		.amdhsa_exception_fp_ieee_underflow 0
		.amdhsa_exception_fp_ieee_inexact 0
		.amdhsa_exception_int_div_zero 0
	.end_amdhsa_kernel
	.text
.Lfunc_end0:
	.size	fft_rtc_back_len1078_factors_2_11_7_7_wgs_231_tpt_77_halfLds_dp_ip_CI_unitstride_sbrr_dirReg, .Lfunc_end0-fft_rtc_back_len1078_factors_2_11_7_7_wgs_231_tpt_77_halfLds_dp_ip_CI_unitstride_sbrr_dirReg
                                        ; -- End function
	.section	.AMDGPU.csdata,"",@progbits
; Kernel info:
; codeLenInByte = 13624
; NumSgprs: 40
; NumVgprs: 197
; ScratchSize: 0
; MemoryBound: 1
; FloatMode: 240
; IeeeMode: 1
; LDSByteSize: 0 bytes/workgroup (compile time only)
; SGPRBlocks: 4
; VGPRBlocks: 24
; NumSGPRsForWavesPerEU: 40
; NumVGPRsForWavesPerEU: 197
; Occupancy: 7
; WaveLimiterHint : 1
; COMPUTE_PGM_RSRC2:SCRATCH_EN: 0
; COMPUTE_PGM_RSRC2:USER_SGPR: 15
; COMPUTE_PGM_RSRC2:TRAP_HANDLER: 0
; COMPUTE_PGM_RSRC2:TGID_X_EN: 1
; COMPUTE_PGM_RSRC2:TGID_Y_EN: 0
; COMPUTE_PGM_RSRC2:TGID_Z_EN: 0
; COMPUTE_PGM_RSRC2:TIDIG_COMP_CNT: 0
	.text
	.p2alignl 7, 3214868480
	.fill 96, 4, 3214868480
	.type	__hip_cuid_1c2dc5a66fa77944,@object ; @__hip_cuid_1c2dc5a66fa77944
	.section	.bss,"aw",@nobits
	.globl	__hip_cuid_1c2dc5a66fa77944
__hip_cuid_1c2dc5a66fa77944:
	.byte	0                               ; 0x0
	.size	__hip_cuid_1c2dc5a66fa77944, 1

	.ident	"AMD clang version 19.0.0git (https://github.com/RadeonOpenCompute/llvm-project roc-6.4.0 25133 c7fe45cf4b819c5991fe208aaa96edf142730f1d)"
	.section	".note.GNU-stack","",@progbits
	.addrsig
	.addrsig_sym __hip_cuid_1c2dc5a66fa77944
	.amdgpu_metadata
---
amdhsa.kernels:
  - .args:
      - .actual_access:  read_only
        .address_space:  global
        .offset:         0
        .size:           8
        .value_kind:     global_buffer
      - .offset:         8
        .size:           8
        .value_kind:     by_value
      - .actual_access:  read_only
        .address_space:  global
        .offset:         16
        .size:           8
        .value_kind:     global_buffer
      - .actual_access:  read_only
        .address_space:  global
        .offset:         24
        .size:           8
        .value_kind:     global_buffer
      - .offset:         32
        .size:           8
        .value_kind:     by_value
      - .actual_access:  read_only
        .address_space:  global
        .offset:         40
        .size:           8
        .value_kind:     global_buffer
      - .actual_access:  read_only
        .address_space:  global
        .offset:         48
        .size:           8
        .value_kind:     global_buffer
      - .offset:         56
        .size:           4
        .value_kind:     by_value
      - .actual_access:  read_only
        .address_space:  global
        .offset:         64
        .size:           8
        .value_kind:     global_buffer
      - .actual_access:  read_only
        .address_space:  global
        .offset:         72
        .size:           8
        .value_kind:     global_buffer
      - .address_space:  global
        .offset:         80
        .size:           8
        .value_kind:     global_buffer
    .group_segment_fixed_size: 0
    .kernarg_segment_align: 8
    .kernarg_segment_size: 88
    .language:       OpenCL C
    .language_version:
      - 2
      - 0
    .max_flat_workgroup_size: 231
    .name:           fft_rtc_back_len1078_factors_2_11_7_7_wgs_231_tpt_77_halfLds_dp_ip_CI_unitstride_sbrr_dirReg
    .private_segment_fixed_size: 0
    .sgpr_count:     40
    .sgpr_spill_count: 0
    .symbol:         fft_rtc_back_len1078_factors_2_11_7_7_wgs_231_tpt_77_halfLds_dp_ip_CI_unitstride_sbrr_dirReg.kd
    .uniform_work_group_size: 1
    .uses_dynamic_stack: false
    .vgpr_count:     197
    .vgpr_spill_count: 0
    .wavefront_size: 32
    .workgroup_processor_mode: 1
amdhsa.target:   amdgcn-amd-amdhsa--gfx1100
amdhsa.version:
  - 1
  - 2
...

	.end_amdgpu_metadata
